;; amdgpu-corpus repo=ROCm/rocFFT kind=compiled arch=gfx1201 opt=O3
	.text
	.amdgcn_target "amdgcn-amd-amdhsa--gfx1201"
	.amdhsa_code_object_version 6
	.protected	fft_rtc_back_len3125_factors_5_5_5_5_5_wgs_125_tpt_125_halfLds_dp_op_CI_CI_unitstride_sbrr_dirReg ; -- Begin function fft_rtc_back_len3125_factors_5_5_5_5_5_wgs_125_tpt_125_halfLds_dp_op_CI_CI_unitstride_sbrr_dirReg
	.globl	fft_rtc_back_len3125_factors_5_5_5_5_5_wgs_125_tpt_125_halfLds_dp_op_CI_CI_unitstride_sbrr_dirReg
	.p2align	8
	.type	fft_rtc_back_len3125_factors_5_5_5_5_5_wgs_125_tpt_125_halfLds_dp_op_CI_CI_unitstride_sbrr_dirReg,@function
fft_rtc_back_len3125_factors_5_5_5_5_5_wgs_125_tpt_125_halfLds_dp_op_CI_CI_unitstride_sbrr_dirReg: ; @fft_rtc_back_len3125_factors_5_5_5_5_5_wgs_125_tpt_125_halfLds_dp_op_CI_CI_unitstride_sbrr_dirReg
; %bb.0:
	s_clause 0x2
	s_load_b128 s[8:11], s[0:1], 0x0
	s_load_b128 s[4:7], s[0:1], 0x58
	;; [unrolled: 1-line block ×3, first 2 shown]
	v_mul_u32_u24_e32 v1, 0x20d, v0
	v_mov_b32_e32 v4, 0
	v_mov_b32_e32 v5, 0
	s_delay_alu instid0(VALU_DEP_3) | instskip(NEXT) | instid1(VALU_DEP_1)
	v_lshrrev_b32_e32 v2, 16, v1
	v_dual_mov_b32 v1, 0 :: v_dual_add_nc_u32 v6, ttmp9, v2
	s_delay_alu instid0(VALU_DEP_1) | instskip(SKIP_2) | instid1(VALU_DEP_1)
	v_mov_b32_e32 v7, v1
	s_wait_kmcnt 0x0
	v_cmp_lt_u64_e64 s2, s[10:11], 2
	s_and_b32 vcc_lo, exec_lo, s2
	s_cbranch_vccnz .LBB0_8
; %bb.1:
	s_load_b64 s[2:3], s[0:1], 0x10
	v_mov_b32_e32 v4, 0
	v_mov_b32_e32 v5, 0
	s_add_nc_u64 s[16:17], s[14:15], 8
	s_add_nc_u64 s[18:19], s[12:13], 8
	s_mov_b64 s[20:21], 1
	s_delay_alu instid0(VALU_DEP_1)
	v_dual_mov_b32 v177, v5 :: v_dual_mov_b32 v176, v4
	s_wait_kmcnt 0x0
	s_add_nc_u64 s[22:23], s[2:3], 8
	s_mov_b32 s3, 0
.LBB0_2:                                ; =>This Inner Loop Header: Depth=1
	s_load_b64 s[24:25], s[22:23], 0x0
                                        ; implicit-def: $vgpr152_vgpr153
	s_mov_b32 s2, exec_lo
	s_wait_kmcnt 0x0
	v_or_b32_e32 v2, s25, v7
	s_delay_alu instid0(VALU_DEP_1)
	v_cmpx_ne_u64_e32 0, v[1:2]
	s_wait_alu 0xfffe
	s_xor_b32 s26, exec_lo, s2
	s_cbranch_execz .LBB0_4
; %bb.3:                                ;   in Loop: Header=BB0_2 Depth=1
	s_cvt_f32_u32 s2, s24
	s_cvt_f32_u32 s27, s25
	s_sub_nc_u64 s[30:31], 0, s[24:25]
	s_wait_alu 0xfffe
	s_delay_alu instid0(SALU_CYCLE_1) | instskip(SKIP_1) | instid1(SALU_CYCLE_2)
	s_fmamk_f32 s2, s27, 0x4f800000, s2
	s_wait_alu 0xfffe
	v_s_rcp_f32 s2, s2
	s_delay_alu instid0(TRANS32_DEP_1) | instskip(SKIP_1) | instid1(SALU_CYCLE_2)
	s_mul_f32 s2, s2, 0x5f7ffffc
	s_wait_alu 0xfffe
	s_mul_f32 s27, s2, 0x2f800000
	s_wait_alu 0xfffe
	s_delay_alu instid0(SALU_CYCLE_2) | instskip(SKIP_1) | instid1(SALU_CYCLE_2)
	s_trunc_f32 s27, s27
	s_wait_alu 0xfffe
	s_fmamk_f32 s2, s27, 0xcf800000, s2
	s_cvt_u32_f32 s29, s27
	s_wait_alu 0xfffe
	s_delay_alu instid0(SALU_CYCLE_1) | instskip(SKIP_1) | instid1(SALU_CYCLE_2)
	s_cvt_u32_f32 s28, s2
	s_wait_alu 0xfffe
	s_mul_u64 s[34:35], s[30:31], s[28:29]
	s_wait_alu 0xfffe
	s_mul_hi_u32 s37, s28, s35
	s_mul_i32 s36, s28, s35
	s_mul_hi_u32 s2, s28, s34
	s_mul_i32 s33, s29, s34
	s_wait_alu 0xfffe
	s_add_nc_u64 s[36:37], s[2:3], s[36:37]
	s_mul_hi_u32 s27, s29, s34
	s_mul_hi_u32 s38, s29, s35
	s_add_co_u32 s2, s36, s33
	s_wait_alu 0xfffe
	s_add_co_ci_u32 s2, s37, s27
	s_mul_i32 s34, s29, s35
	s_add_co_ci_u32 s35, s38, 0
	s_wait_alu 0xfffe
	s_add_nc_u64 s[34:35], s[2:3], s[34:35]
	s_wait_alu 0xfffe
	v_add_co_u32 v2, s2, s28, s34
	s_delay_alu instid0(VALU_DEP_1) | instskip(SKIP_1) | instid1(VALU_DEP_1)
	s_cmp_lg_u32 s2, 0
	s_add_co_ci_u32 s29, s29, s35
	v_readfirstlane_b32 s28, v2
	s_wait_alu 0xfffe
	s_delay_alu instid0(VALU_DEP_1)
	s_mul_u64 s[30:31], s[30:31], s[28:29]
	s_wait_alu 0xfffe
	s_mul_hi_u32 s35, s28, s31
	s_mul_i32 s34, s28, s31
	s_mul_hi_u32 s2, s28, s30
	s_mul_i32 s33, s29, s30
	s_wait_alu 0xfffe
	s_add_nc_u64 s[34:35], s[2:3], s[34:35]
	s_mul_hi_u32 s27, s29, s30
	s_mul_hi_u32 s28, s29, s31
	s_wait_alu 0xfffe
	s_add_co_u32 s2, s34, s33
	s_add_co_ci_u32 s2, s35, s27
	s_mul_i32 s30, s29, s31
	s_add_co_ci_u32 s31, s28, 0
	s_wait_alu 0xfffe
	s_add_nc_u64 s[30:31], s[2:3], s[30:31]
	s_wait_alu 0xfffe
	v_add_co_u32 v8, s2, v2, s30
	s_delay_alu instid0(VALU_DEP_1) | instskip(SKIP_1) | instid1(VALU_DEP_1)
	s_cmp_lg_u32 s2, 0
	s_add_co_ci_u32 s2, s29, s31
	v_mul_hi_u32 v12, v6, v8
	s_wait_alu 0xfffe
	v_mad_co_u64_u32 v[2:3], null, v6, s2, 0
	v_mad_co_u64_u32 v[8:9], null, v7, v8, 0
	;; [unrolled: 1-line block ×3, first 2 shown]
	s_delay_alu instid0(VALU_DEP_3) | instskip(SKIP_1) | instid1(VALU_DEP_4)
	v_add_co_u32 v2, vcc_lo, v12, v2
	s_wait_alu 0xfffd
	v_add_co_ci_u32_e32 v3, vcc_lo, 0, v3, vcc_lo
	s_delay_alu instid0(VALU_DEP_2) | instskip(SKIP_1) | instid1(VALU_DEP_2)
	v_add_co_u32 v2, vcc_lo, v2, v8
	s_wait_alu 0xfffd
	v_add_co_ci_u32_e32 v2, vcc_lo, v3, v9, vcc_lo
	s_wait_alu 0xfffd
	v_add_co_ci_u32_e32 v3, vcc_lo, 0, v11, vcc_lo
	s_delay_alu instid0(VALU_DEP_2) | instskip(SKIP_1) | instid1(VALU_DEP_2)
	v_add_co_u32 v8, vcc_lo, v2, v10
	s_wait_alu 0xfffd
	v_add_co_ci_u32_e32 v9, vcc_lo, 0, v3, vcc_lo
	s_delay_alu instid0(VALU_DEP_2) | instskip(SKIP_1) | instid1(VALU_DEP_3)
	v_mul_lo_u32 v10, s25, v8
	v_mad_co_u64_u32 v[2:3], null, s24, v8, 0
	v_mul_lo_u32 v11, s24, v9
	s_delay_alu instid0(VALU_DEP_2) | instskip(NEXT) | instid1(VALU_DEP_2)
	v_sub_co_u32 v2, vcc_lo, v6, v2
	v_add3_u32 v3, v3, v11, v10
	s_delay_alu instid0(VALU_DEP_1) | instskip(SKIP_1) | instid1(VALU_DEP_1)
	v_sub_nc_u32_e32 v10, v7, v3
	s_wait_alu 0xfffd
	v_subrev_co_ci_u32_e64 v10, s2, s25, v10, vcc_lo
	v_add_co_u32 v11, s2, v8, 2
	s_wait_alu 0xf1ff
	v_add_co_ci_u32_e64 v12, s2, 0, v9, s2
	v_sub_co_u32 v13, s2, v2, s24
	v_sub_co_ci_u32_e32 v3, vcc_lo, v7, v3, vcc_lo
	s_wait_alu 0xf1ff
	v_subrev_co_ci_u32_e64 v10, s2, 0, v10, s2
	s_delay_alu instid0(VALU_DEP_3) | instskip(NEXT) | instid1(VALU_DEP_3)
	v_cmp_le_u32_e32 vcc_lo, s24, v13
	v_cmp_eq_u32_e64 s2, s25, v3
	s_wait_alu 0xfffd
	v_cndmask_b32_e64 v13, 0, -1, vcc_lo
	v_cmp_le_u32_e32 vcc_lo, s25, v10
	s_wait_alu 0xfffd
	v_cndmask_b32_e64 v14, 0, -1, vcc_lo
	v_cmp_le_u32_e32 vcc_lo, s24, v2
	;; [unrolled: 3-line block ×3, first 2 shown]
	s_wait_alu 0xfffd
	v_cndmask_b32_e64 v15, 0, -1, vcc_lo
	v_cmp_eq_u32_e32 vcc_lo, s25, v10
	s_wait_alu 0xf1ff
	s_delay_alu instid0(VALU_DEP_2)
	v_cndmask_b32_e64 v2, v15, v2, s2
	s_wait_alu 0xfffd
	v_cndmask_b32_e32 v10, v14, v13, vcc_lo
	v_add_co_u32 v13, vcc_lo, v8, 1
	s_wait_alu 0xfffd
	v_add_co_ci_u32_e32 v14, vcc_lo, 0, v9, vcc_lo
	s_delay_alu instid0(VALU_DEP_3) | instskip(SKIP_1) | instid1(VALU_DEP_2)
	v_cmp_ne_u32_e32 vcc_lo, 0, v10
	s_wait_alu 0xfffd
	v_dual_cndmask_b32 v3, v14, v12 :: v_dual_cndmask_b32 v10, v13, v11
	v_cmp_ne_u32_e32 vcc_lo, 0, v2
	s_wait_alu 0xfffd
	s_delay_alu instid0(VALU_DEP_2)
	v_dual_cndmask_b32 v153, v9, v3 :: v_dual_cndmask_b32 v152, v8, v10
.LBB0_4:                                ;   in Loop: Header=BB0_2 Depth=1
	s_wait_alu 0xfffe
	s_and_not1_saveexec_b32 s2, s26
	s_cbranch_execz .LBB0_6
; %bb.5:                                ;   in Loop: Header=BB0_2 Depth=1
	v_cvt_f32_u32_e32 v2, s24
	s_sub_co_i32 s26, 0, s24
	v_mov_b32_e32 v153, v1
	s_delay_alu instid0(VALU_DEP_2) | instskip(NEXT) | instid1(TRANS32_DEP_1)
	v_rcp_iflag_f32_e32 v2, v2
	v_mul_f32_e32 v2, 0x4f7ffffe, v2
	s_delay_alu instid0(VALU_DEP_1) | instskip(SKIP_1) | instid1(VALU_DEP_1)
	v_cvt_u32_f32_e32 v2, v2
	s_wait_alu 0xfffe
	v_mul_lo_u32 v3, s26, v2
	s_delay_alu instid0(VALU_DEP_1) | instskip(NEXT) | instid1(VALU_DEP_1)
	v_mul_hi_u32 v3, v2, v3
	v_add_nc_u32_e32 v2, v2, v3
	s_delay_alu instid0(VALU_DEP_1) | instskip(NEXT) | instid1(VALU_DEP_1)
	v_mul_hi_u32 v2, v6, v2
	v_mul_lo_u32 v3, v2, s24
	v_add_nc_u32_e32 v8, 1, v2
	s_delay_alu instid0(VALU_DEP_2) | instskip(NEXT) | instid1(VALU_DEP_1)
	v_sub_nc_u32_e32 v3, v6, v3
	v_subrev_nc_u32_e32 v9, s24, v3
	v_cmp_le_u32_e32 vcc_lo, s24, v3
	s_wait_alu 0xfffd
	s_delay_alu instid0(VALU_DEP_2) | instskip(NEXT) | instid1(VALU_DEP_1)
	v_dual_cndmask_b32 v3, v3, v9 :: v_dual_cndmask_b32 v2, v2, v8
	v_cmp_le_u32_e32 vcc_lo, s24, v3
	s_delay_alu instid0(VALU_DEP_2) | instskip(SKIP_1) | instid1(VALU_DEP_1)
	v_add_nc_u32_e32 v8, 1, v2
	s_wait_alu 0xfffd
	v_cndmask_b32_e32 v152, v2, v8, vcc_lo
.LBB0_6:                                ;   in Loop: Header=BB0_2 Depth=1
	s_wait_alu 0xfffe
	s_or_b32 exec_lo, exec_lo, s2
	v_mul_lo_u32 v8, v153, s24
	s_delay_alu instid0(VALU_DEP_2)
	v_mul_lo_u32 v9, v152, s25
	s_load_b64 s[26:27], s[18:19], 0x0
	v_mad_co_u64_u32 v[2:3], null, v152, s24, 0
	s_load_b64 s[24:25], s[16:17], 0x0
	s_add_nc_u64 s[20:21], s[20:21], 1
	s_add_nc_u64 s[16:17], s[16:17], 8
	s_wait_alu 0xfffe
	v_cmp_ge_u64_e64 s2, s[20:21], s[10:11]
	s_add_nc_u64 s[18:19], s[18:19], 8
	s_add_nc_u64 s[22:23], s[22:23], 8
	v_add3_u32 v3, v3, v9, v8
	v_sub_co_u32 v2, vcc_lo, v6, v2
	s_wait_alu 0xfffd
	s_delay_alu instid0(VALU_DEP_2) | instskip(SKIP_2) | instid1(VALU_DEP_1)
	v_sub_co_ci_u32_e32 v3, vcc_lo, v7, v3, vcc_lo
	s_and_b32 vcc_lo, exec_lo, s2
	s_wait_kmcnt 0x0
	v_mul_lo_u32 v6, s26, v3
	v_mul_lo_u32 v7, s27, v2
	v_mad_co_u64_u32 v[4:5], null, s26, v2, v[4:5]
	v_mul_lo_u32 v3, s24, v3
	v_mul_lo_u32 v8, s25, v2
	v_mad_co_u64_u32 v[176:177], null, s24, v2, v[176:177]
	s_delay_alu instid0(VALU_DEP_4) | instskip(NEXT) | instid1(VALU_DEP_2)
	v_add3_u32 v5, v7, v5, v6
	v_add3_u32 v177, v8, v177, v3
	s_wait_alu 0xfffe
	s_cbranch_vccnz .LBB0_9
; %bb.7:                                ;   in Loop: Header=BB0_2 Depth=1
	v_dual_mov_b32 v6, v152 :: v_dual_mov_b32 v7, v153
	s_branch .LBB0_2
.LBB0_8:
	v_dual_mov_b32 v177, v5 :: v_dual_mov_b32 v176, v4
	v_dual_mov_b32 v153, v7 :: v_dual_mov_b32 v152, v6
.LBB0_9:
	s_load_b64 s[0:1], s[0:1], 0x28
	v_mul_hi_u32 v1, 0x20c49bb, v0
	s_lshl_b64 s[2:3], s[10:11], 3
                                        ; implicit-def: $vgpr184
	s_wait_kmcnt 0x0
	v_cmp_gt_u64_e32 vcc_lo, s[0:1], v[152:153]
	v_cmp_le_u64_e64 s0, s[0:1], v[152:153]
	s_delay_alu instid0(VALU_DEP_1)
	s_and_saveexec_b32 s1, s0
	s_wait_alu 0xfffe
	s_xor_b32 s0, exec_lo, s1
; %bb.10:
	v_mul_u32_u24_e32 v1, 0x7d, v1
                                        ; implicit-def: $vgpr4_vgpr5
	s_delay_alu instid0(VALU_DEP_1)
	v_sub_nc_u32_e32 v184, v0, v1
                                        ; implicit-def: $vgpr1
                                        ; implicit-def: $vgpr0
; %bb.11:
	s_wait_alu 0xfffe
	s_or_saveexec_b32 s1, s0
	s_add_nc_u64 s[16:17], s[14:15], s[2:3]
                                        ; implicit-def: $vgpr38_vgpr39
                                        ; implicit-def: $vgpr58_vgpr59
                                        ; implicit-def: $vgpr70_vgpr71
                                        ; implicit-def: $vgpr66_vgpr67
                                        ; implicit-def: $vgpr82_vgpr83
                                        ; implicit-def: $vgpr30_vgpr31
                                        ; implicit-def: $vgpr42_vgpr43
                                        ; implicit-def: $vgpr54_vgpr55
                                        ; implicit-def: $vgpr74_vgpr75
                                        ; implicit-def: $vgpr62_vgpr63
                                        ; implicit-def: $vgpr86_vgpr87
                                        ; implicit-def: $vgpr90_vgpr91
                                        ; implicit-def: $vgpr94_vgpr95
                                        ; implicit-def: $vgpr98_vgpr99
                                        ; implicit-def: $vgpr50_vgpr51
                                        ; implicit-def: $vgpr2_vgpr3
                                        ; implicit-def: $vgpr14_vgpr15
                                        ; implicit-def: $vgpr10_vgpr11
                                        ; implicit-def: $vgpr34_vgpr35
                                        ; implicit-def: $vgpr26_vgpr27
                                        ; implicit-def: $vgpr6_vgpr7
                                        ; implicit-def: $vgpr46_vgpr47
                                        ; implicit-def: $vgpr22_vgpr23
                                        ; implicit-def: $vgpr78_vgpr79
                                        ; implicit-def: $vgpr18_vgpr19
	s_wait_alu 0xfffe
	s_xor_b32 exec_lo, exec_lo, s1
	s_cbranch_execz .LBB0_13
; %bb.12:
	s_add_nc_u64 s[2:3], s[12:13], s[2:3]
	s_load_b64 s[2:3], s[2:3], 0x0
	s_wait_kmcnt 0x0
	v_mul_lo_u32 v6, s3, v152
	v_mul_lo_u32 v7, s2, v153
	v_mad_co_u64_u32 v[2:3], null, s2, v152, 0
	s_delay_alu instid0(VALU_DEP_1) | instskip(SKIP_1) | instid1(VALU_DEP_2)
	v_add3_u32 v3, v3, v7, v6
	v_mul_u32_u24_e32 v6, 0x7d, v1
	v_lshlrev_b64_e32 v[1:2], 4, v[2:3]
	v_lshlrev_b64_e32 v[3:4], 4, v[4:5]
	s_delay_alu instid0(VALU_DEP_3) | instskip(NEXT) | instid1(VALU_DEP_3)
	v_sub_nc_u32_e32 v184, v0, v6
	v_add_co_u32 v0, s0, s4, v1
	s_wait_alu 0xf1ff
	s_delay_alu instid0(VALU_DEP_4) | instskip(NEXT) | instid1(VALU_DEP_3)
	v_add_co_ci_u32_e64 v1, s0, s5, v2, s0
	v_lshlrev_b32_e32 v2, 4, v184
	s_delay_alu instid0(VALU_DEP_3) | instskip(SKIP_1) | instid1(VALU_DEP_3)
	v_add_co_u32 v0, s0, v0, v3
	s_wait_alu 0xf1ff
	v_add_co_ci_u32_e64 v1, s0, v1, v4, s0
	s_delay_alu instid0(VALU_DEP_2) | instskip(SKIP_1) | instid1(VALU_DEP_2)
	v_add_co_u32 v36, s0, v0, v2
	s_wait_alu 0xf1ff
	v_add_co_ci_u32_e64 v37, s0, 0, v1, s0
	s_clause 0x18
	global_load_b128 v[16:19], v[36:37], off
	global_load_b128 v[24:27], v[36:37], off offset:2000
	global_load_b128 v[20:23], v[36:37], off offset:20000
	;; [unrolled: 1-line block ×24, first 2 shown]
.LBB0_13:
	s_or_b32 exec_lo, exec_lo, s1
	s_wait_loadcnt 0x8
	v_add_f64_e32 v[102:103], v[4:5], v[76:77]
	s_wait_loadcnt 0x4
	v_add_f64_e32 v[104:105], v[44:45], v[20:21]
	v_add_f64_e32 v[106:107], v[0:1], v[32:33]
	;; [unrolled: 1-line block ×4, first 2 shown]
	s_wait_loadcnt 0x2
	v_add_f64_e32 v[124:125], v[40:41], v[52:53]
	v_add_f64_e32 v[128:129], v[28:29], v[72:73]
	s_wait_loadcnt 0x1
	v_add_f64_e32 v[132:133], v[56:57], v[68:69]
	s_wait_loadcnt 0x0
	v_add_f64_e32 v[136:137], v[36:37], v[64:65]
	v_add_f64_e32 v[110:111], v[96:97], v[48:49]
	;; [unrolled: 1-line block ×4, first 2 shown]
	v_add_f64_e64 v[160:161], v[22:23], -v[46:47]
	v_add_f64_e64 v[162:163], v[78:79], -v[6:7]
	;; [unrolled: 1-line block ×4, first 2 shown]
	v_add_f64_e32 v[112:113], v[98:99], v[50:51]
	v_add_f64_e64 v[114:115], v[94:95], -v[90:91]
	v_add_f64_e64 v[166:167], v[74:75], -v[30:31]
	;; [unrolled: 1-line block ×6, first 2 shown]
	v_add_f64_e32 v[168:169], v[64:65], v[80:81]
	v_add_f64_e32 v[174:175], v[2:3], v[34:35]
	s_mov_b32 s12, 0x134454ff
	s_mov_b32 s13, 0xbfee6f0e
	;; [unrolled: 1-line block ×4, first 2 shown]
	v_add_f64_e64 v[116:117], v[96:97], -v[92:93]
	v_add_f64_e64 v[118:119], v[92:93], -v[96:97]
	;; [unrolled: 1-line block ×8, first 2 shown]
	v_add_f64_e32 v[120:121], v[90:91], v[94:95]
	v_fma_f64 v[102:103], v[102:103], -0.5, v[16:17]
	v_fma_f64 v[16:17], v[104:105], -0.5, v[16:17]
	;; [unrolled: 1-line block ×5, first 2 shown]
	v_add_f64_e32 v[108:109], v[72:73], v[60:61]
	v_fma_f64 v[124:125], v[124:125], -0.5, v[60:61]
	v_add_f64_e64 v[122:123], v[54:55], -v[42:43]
	v_fma_f64 v[60:61], v[128:129], -0.5, v[60:61]
	v_fma_f64 v[132:133], v[132:133], -0.5, v[80:81]
	;; [unrolled: 1-line block ×3, first 2 shown]
	v_add_f64_e32 v[136:137], v[32:33], v[24:25]
	v_add_f64_e64 v[128:129], v[66:67], -v[38:39]
	v_add_f64_e32 v[92:93], v[92:93], v[110:111]
	v_add_f64_e32 v[110:111], v[20:21], v[148:149]
	v_fma_f64 v[24:25], v[150:151], -0.5, v[24:25]
	v_add_f64_e64 v[126:127], v[98:99], -v[94:95]
	v_add_f64_e64 v[130:131], v[94:95], -v[98:99]
	;; [unrolled: 1-line block ×3, first 2 shown]
	v_add_f64_e32 v[94:95], v[94:95], v[112:113]
	v_add_f64_e64 v[187:188], v[72:73], -v[52:53]
	v_add_f64_e64 v[197:198], v[28:29], -v[40:41]
	;; [unrolled: 1-line block ×9, first 2 shown]
	v_add_f64_e32 v[168:169], v[68:69], v[168:169]
	v_add_f64_e32 v[146:147], v[154:155], v[146:147]
	;; [unrolled: 1-line block ×3, first 2 shown]
	v_fma_f64 v[158:159], v[174:175], -0.5, v[26:27]
	s_mov_b32 s4, 0x4755a5e
	s_mov_b32 s5, 0xbfe2cf23
	;; [unrolled: 1-line block ×3, first 2 shown]
	s_wait_alu 0xfffe
	s_mov_b32 s10, s4
	v_add_f64_e32 v[116:117], v[138:139], v[116:117]
	v_fma_f64 v[189:190], v[160:161], s[14:15], v[102:103]
	v_fma_f64 v[102:103], v[160:161], s[12:13], v[102:103]
	;; [unrolled: 1-line block ×8, first 2 shown]
	v_add_f64_e32 v[108:109], v[52:53], v[108:109]
	v_fma_f64 v[209:210], v[166:167], s[12:13], v[124:125]
	v_fma_f64 v[211:212], v[122:123], s[14:15], v[60:61]
	;; [unrolled: 1-line block ×3, first 2 shown]
	v_add_f64_e32 v[8:9], v[8:9], v[136:137]
	v_fma_f64 v[213:214], v[128:129], s[12:13], v[132:133]
	v_add_f64_e32 v[88:89], v[88:89], v[92:93]
	v_add_f64_e32 v[92:93], v[44:45], v[110:111]
	v_fma_f64 v[110:111], v[182:183], s[12:13], v[24:25]
	v_fma_f64 v[16:17], v[162:163], s[14:15], v[16:17]
	;; [unrolled: 1-line block ×4, first 2 shown]
	v_add_f64_e32 v[136:137], v[180:181], v[178:179]
	v_add_f64_e64 v[203:204], v[68:69], -v[64:65]
	v_add_f64_e64 v[205:206], v[56:57], -v[36:37]
	v_fma_f64 v[156:157], v[172:173], s[14:15], v[80:81]
	v_fma_f64 v[80:81], v[172:173], s[12:13], v[80:81]
	;; [unrolled: 1-line block ×4, first 2 shown]
	v_add_f64_e32 v[118:119], v[140:141], v[118:119]
	v_add_f64_e32 v[140:141], v[197:198], v[187:188]
	v_add_f64_e64 v[180:181], v[10:11], -v[34:35]
	v_add_f64_e64 v[32:33], v[32:33], -v[0:1]
	v_add_f64_e32 v[148:149], v[148:149], v[170:171]
	v_add_f64_e32 v[150:151], v[185:186], v[150:151]
	;; [unrolled: 1-line block ×4, first 2 shown]
	s_mov_b32 s2, 0x372fe950
	s_mov_b32 s3, 0x3fd3c6ef
	v_add_f64_e64 v[96:97], v[96:97], -v[84:85]
	v_fma_f64 v[138:139], v[162:163], s[4:5], v[189:190]
	s_wait_alu 0xfffe
	v_fma_f64 v[102:103], v[162:163], s[10:11], v[102:103]
	v_fma_f64 v[162:163], v[160:161], s[4:5], v[191:192]
	;; [unrolled: 1-line block ×7, first 2 shown]
	v_add_f64_e32 v[108:109], v[40:41], v[108:109]
	v_fma_f64 v[134:135], v[122:123], s[4:5], v[209:210]
	v_add_f64_e64 v[182:183], v[14:15], -v[2:3]
	v_fma_f64 v[185:186], v[166:167], s[4:5], v[211:212]
	v_fma_f64 v[60:61], v[166:167], s[10:11], v[60:61]
	v_add_f64_e32 v[8:9], v[12:13], v[8:9]
	v_fma_f64 v[12:13], v[207:208], s[14:15], v[158:159]
	v_fma_f64 v[166:167], v[172:173], s[4:5], v[213:214]
	v_add_f64_e32 v[84:85], v[84:85], v[88:89]
	v_add_f64_e32 v[88:89], v[4:5], v[92:93]
	v_fma_f64 v[92:93], v[164:165], s[4:5], v[110:111]
	v_fma_f64 v[110:111], v[122:123], s[10:11], v[124:125]
	;; [unrolled: 1-line block ×3, first 2 shown]
	v_add_f64_e64 v[142:143], v[86:87], -v[90:91]
	v_add_f64_e64 v[144:145], v[90:91], -v[86:87]
	v_add_f64_e32 v[187:188], v[205:206], v[203:204]
	v_fma_f64 v[120:121], v[120:121], -0.5, v[50:51]
	v_fma_f64 v[156:157], v[128:129], s[4:5], v[156:157]
	v_fma_f64 v[80:81], v[128:129], s[10:11], v[80:81]
	v_add_f64_e32 v[90:91], v[90:91], v[94:95]
	v_fma_f64 v[94:95], v[172:173], s[10:11], v[132:133]
	v_fma_f64 v[16:17], v[160:161], s[10:11], v[16:17]
	;; [unrolled: 1-line block ×3, first 2 shown]
	v_add_f64_e32 v[98:99], v[86:87], v[98:99]
	v_add_f64_e32 v[160:161], v[42:43], v[54:55]
	v_fma_f64 v[128:129], v[207:208], s[12:13], v[158:159]
	v_add_f64_e32 v[158:159], v[14:15], v[10:11]
	v_add_f64_e32 v[164:165], v[58:59], v[70:71]
	v_add_f64_e64 v[20:21], v[20:21], -v[44:45]
	v_add_f64_e64 v[4:5], v[76:77], -v[4:5]
	v_fma_f64 v[114:115], v[154:155], s[2:3], v[138:139]
	v_fma_f64 v[102:103], v[154:155], s[2:3], v[102:103]
	;; [unrolled: 1-line block ×6, first 2 shown]
	v_add_f64_e32 v[138:139], v[46:47], v[22:23]
	v_add_f64_e32 v[154:155], v[6:7], v[78:79]
	v_fma_f64 v[112:113], v[118:119], s[2:3], v[112:113]
	v_fma_f64 v[48:49], v[118:119], s[2:3], v[48:49]
	v_add_f64_e32 v[108:109], v[28:29], v[108:109]
	v_fma_f64 v[118:119], v[140:141], s[2:3], v[134:135]
	v_add_f64_e32 v[162:163], v[30:31], v[74:75]
	v_add_f64_e32 v[134:135], v[36:37], v[168:169]
	v_fma_f64 v[168:169], v[170:171], s[2:3], v[185:186]
	v_fma_f64 v[60:61], v[170:171], s[2:3], v[60:61]
	v_add_f64_e32 v[170:171], v[38:39], v[66:67]
	v_add_f64_e32 v[172:173], v[182:183], v[180:181]
	v_fma_f64 v[12:13], v[32:33], s[4:5], v[12:13]
	v_fma_f64 v[166:167], v[150:151], s[2:3], v[166:167]
	v_mad_u32_u24 v178, v184, 40, 0
	v_add_f64_e32 v[136:137], v[78:79], v[18:19]
	v_add_f64_e32 v[0:1], v[0:1], v[8:9]
	v_fma_f64 v[8:9], v[148:149], s[2:3], v[92:93]
	v_fma_f64 v[174:175], v[96:97], s[14:15], v[120:121]
	v_add_nc_u32_e32 v180, 0x1398, v178
	v_add_nc_u32_e32 v181, 0x2710, v178
	v_fma_f64 v[156:157], v[187:188], s[2:3], v[156:157]
	v_fma_f64 v[80:81], v[187:188], s[2:3], v[80:81]
	;; [unrolled: 1-line block ×5, first 2 shown]
	v_add_f64_e32 v[86:87], v[86:87], v[90:91]
	v_fma_f64 v[90:91], v[150:151], s[2:3], v[94:95]
	v_fma_f64 v[94:95], v[140:141], s[2:3], v[110:111]
	v_add_f64_e64 v[28:29], v[72:73], -v[28:29]
	v_add_f64_e64 v[40:41], v[52:53], -v[40:41]
	;; [unrolled: 1-line block ×3, first 2 shown]
	ds_store_2addr_b64 v178, v[88:89], v[122:123] offset1:1
	ds_store_2addr_b64 v178, v[114:115], v[102:103] offset0:2 offset1:3
	ds_store_2addr_b64 v180, v[124:125], v[104:105] offset1:1
	ds_store_2addr_b64 v181, v[84:85], v[132:133] offset1:1
	v_add_nc_u32_e32 v122, 0x2720, v178
	v_add_nc_u32_e32 v123, 0x3a98, v178
	v_add_f64_e32 v[84:85], v[74:75], v[62:63]
	v_add_f64_e32 v[88:89], v[66:67], v[82:83]
	v_fma_f64 v[44:45], v[154:155], -0.5, v[18:19]
	v_fma_f64 v[18:19], v[138:139], -0.5, v[18:19]
	ds_store_2addr_b64 v122, v[112:113], v[48:49] offset1:1
	ds_store_2addr_b64 v123, v[108:109], v[118:119] offset1:1
	v_fma_f64 v[48:49], v[98:99], -0.5, v[50:51]
	v_fma_f64 v[50:51], v[160:161], -0.5, v[62:63]
	v_add_nc_u32_e32 v124, 0x3aa8, v178
	v_add_nc_u32_e32 v125, 0x4e20, v178
	ds_store_2addr_b64 v124, v[168:169], v[60:61] offset1:1
	ds_store_2addr_b64 v125, v[134:135], v[166:167] offset1:1
	v_fma_f64 v[60:61], v[158:159], -0.5, v[26:27]
	v_fma_f64 v[52:53], v[162:163], -0.5, v[62:63]
	v_fma_f64 v[62:63], v[172:173], s[2:3], v[12:13]
	v_add_f64_e64 v[12:13], v[68:69], -v[56:57]
	v_fma_f64 v[56:57], v[170:171], -0.5, v[82:83]
	v_fma_f64 v[64:65], v[164:165], -0.5, v[82:83]
	v_add_f64_e32 v[26:27], v[34:35], v[26:27]
	v_add_nc_u32_e32 v138, 0x4e30, v178
	v_add_f64_e32 v[68:69], v[142:143], v[126:127]
	v_add_f64_e64 v[76:77], v[78:79], -v[22:23]
	v_add_f64_e64 v[98:99], v[30:31], -v[42:43]
	;; [unrolled: 1-line block ×3, first 2 shown]
	ds_store_2addr_b64 v138, v[156:157], v[80:81] offset1:1
	ds_store_b64 v178, v[16:17] offset:32
	ds_store_b64 v178, v[24:25] offset:5032
	;; [unrolled: 1-line block ×4, first 2 shown]
	v_fma_f64 v[16:17], v[100:101], s[10:11], v[174:175]
	v_add_f64_e32 v[24:25], v[22:23], v[136:137]
	v_add_f64_e64 v[22:23], v[22:23], -v[78:79]
	v_add_f64_e64 v[78:79], v[6:7], -v[46:47]
	;; [unrolled: 1-line block ×7, first 2 shown]
	v_fma_f64 v[112:113], v[96:97], s[12:13], v[120:121]
	v_add_f64_e32 v[84:85], v[54:55], v[84:85]
	v_add_f64_e64 v[54:55], v[54:55], -v[74:75]
	v_fma_f64 v[74:75], v[20:21], s[12:13], v[44:45]
	v_fma_f64 v[44:45], v[20:21], s[14:15], v[44:45]
	;; [unrolled: 1-line block ×3, first 2 shown]
	v_add_f64_e32 v[88:89], v[70:71], v[88:89]
	v_fma_f64 v[104:105], v[100:101], s[12:13], v[48:49]
	v_fma_f64 v[48:49], v[100:101], s[14:15], v[48:49]
	;; [unrolled: 1-line block ×5, first 2 shown]
	v_add_f64_e64 v[66:67], v[70:71], -v[66:67]
	v_add_f64_e64 v[114:115], v[38:39], -v[58:59]
	v_fma_f64 v[128:129], v[32:33], s[10:11], v[128:129]
	v_fma_f64 v[110:111], v[32:33], s[12:13], v[60:61]
	;; [unrolled: 1-line block ×4, first 2 shown]
	v_add_f64_e64 v[116:117], v[58:59], -v[38:39]
	v_fma_f64 v[118:119], v[12:13], s[12:13], v[56:57]
	v_fma_f64 v[120:121], v[36:37], s[14:15], v[64:65]
	;; [unrolled: 1-line block ×3, first 2 shown]
	v_add_f64_e32 v[10:11], v[10:11], v[26:27]
	v_fma_f64 v[26:27], v[32:33], s[14:15], v[60:61]
	v_fma_f64 v[32:33], v[36:37], s[12:13], v[64:65]
	v_add_nc_u32_e32 v179, 0x1388, v178
	ds_store_2addr_b64 v179, v[0:1], v[8:9] offset1:1
	ds_store_b64 v178, v[90:91] offset:20032
	v_fma_f64 v[60:61], v[68:69], s[2:3], v[16:17]
	v_add_f64_e32 v[0:1], v[46:47], v[24:25]
	v_lshlrev_b32_e32 v126, 5, v184
	v_add_f64_e32 v[22:23], v[80:81], v[22:23]
	v_add_nc_u32_e32 v136, 0x7d, v184
	s_load_b64 s[16:17], s[16:17], 0x0
	global_wb scope:SCOPE_SE
	s_wait_dscnt 0x0
	v_fma_f64 v[80:81], v[100:101], s[4:5], v[112:113]
	v_add_f64_e32 v[16:17], v[42:43], v[84:85]
	v_add_f64_e32 v[42:43], v[78:79], v[76:77]
	v_fma_f64 v[46:47], v[4:5], s[10:11], v[74:75]
	v_fma_f64 v[4:5], v[4:5], s[4:5], v[44:45]
	;; [unrolled: 1-line block ×3, first 2 shown]
	v_add_f64_e32 v[24:25], v[58:59], v[88:89]
	v_add_f64_e32 v[58:59], v[144:145], v[130:131]
	v_fma_f64 v[64:65], v[96:97], s[10:11], v[104:105]
	v_fma_f64 v[48:49], v[96:97], s[4:5], v[48:49]
	v_add_f64_e32 v[74:75], v[98:99], v[92:93]
	v_fma_f64 v[76:77], v[40:41], s[10:11], v[108:109]
	v_fma_f64 v[18:19], v[20:21], s[4:5], v[18:19]
	v_add_f64_e32 v[20:21], v[82:83], v[34:35]
	v_fma_f64 v[40:41], v[40:41], s[4:5], v[50:51]
	v_add_f64_e32 v[50:51], v[102:103], v[54:55]
	v_fma_f64 v[54:55], v[28:29], s[10:11], v[70:71]
	v_fma_f64 v[28:29], v[28:29], s[4:5], v[52:53]
	v_add_f64_e32 v[52:53], v[114:115], v[106:107]
	v_fma_f64 v[70:71], v[36:37], s[10:11], v[118:119]
	v_fma_f64 v[82:83], v[12:13], s[10:11], v[120:121]
	v_fma_f64 v[36:37], v[36:37], s[4:5], v[56:57]
	v_add_f64_e32 v[56:57], v[14:15], v[10:11]
	v_fma_f64 v[26:27], v[207:208], s[10:11], v[26:27]
	;; [unrolled: 4-line block ×3, first 2 shown]
	v_and_b32_e32 v144, 0xff, v184
	v_sub_nc_u32_e32 v154, v178, v126
	v_and_b32_e32 v143, 0xff, v136
	s_wait_kmcnt 0x0
	s_barrier_signal -1
	v_add_f64_e32 v[88:89], v[6:7], v[0:1]
	s_barrier_wait -1
	v_add_nc_u32_e32 v157, 0x2400, v154
	v_add_nc_u32_e32 v135, 0x3400, v154
	;; [unrolled: 1-line block ×4, first 2 shown]
	v_fma_f64 v[68:69], v[68:69], s[2:3], v[80:81]
	v_add_f64_e32 v[96:97], v[30:31], v[16:17]
	v_add_nc_u32_e32 v133, 0x1c00, v154
	v_fma_f64 v[90:91], v[22:23], s[2:3], v[46:47]
	v_fma_f64 v[94:95], v[22:23], s[2:3], v[4:5]
	v_fma_f64 v[92:93], v[42:43], s[2:3], v[44:45]
	v_add_nc_u32_e32 v168, 0x3c00, v154
	v_add_nc_u32_e32 v134, 0x4400, v154
	v_fma_f64 v[64:65], v[58:59], s[2:3], v[64:65]
	v_fma_f64 v[48:49], v[58:59], s[2:3], v[48:49]
	v_add_nc_u32_e32 v130, 0xc00, v154
	v_fma_f64 v[58:59], v[74:75], s[2:3], v[76:77]
	v_fma_f64 v[98:99], v[42:43], s[2:3], v[18:19]
	v_add_f64_e32 v[76:77], v[38:39], v[24:25]
	v_fma_f64 v[74:75], v[74:75], s[2:3], v[40:41]
	v_add_nc_u32_e32 v156, 0x400, v154
	v_fma_f64 v[54:55], v[50:51], s[2:3], v[54:55]
	v_fma_f64 v[50:51], v[50:51], s[2:3], v[28:29]
	v_add_nc_u32_e32 v132, 0x2c00, v154
	v_add_nc_u32_e32 v131, 0x5400, v154
	v_fma_f64 v[80:81], v[52:53], s[2:3], v[82:83]
	global_inv scope:SCOPE_SE
	v_add_f64_e32 v[56:57], v[2:3], v[56:57]
	v_fma_f64 v[82:83], v[20:21], s[2:3], v[26:27]
	v_fma_f64 v[78:79], v[20:21], s[2:3], v[78:79]
	;; [unrolled: 1-line block ×5, first 2 shown]
	v_mul_lo_u16 v84, 0xcd, v144
	ds_load_b64 v[128:129], v154 offset:24000
	ds_load_2addr_b64 v[12:15], v154 offset1:125
	ds_load_2addr_b64 v[8:11], v130 offset0:116 offset1:241
	ds_load_2addr_b64 v[32:35], v157 offset0:98 offset1:223
	;; [unrolled: 1-line block ×4, first 2 shown]
	v_lshrrev_b16 v148, 10, v84
	v_mul_lo_u16 v84, 0xcd, v143
	ds_load_2addr_b64 v[28:31], v164 offset0:110 offset1:235
	ds_load_2addr_b64 v[24:27], v168 offset0:80 offset1:205
	;; [unrolled: 1-line block ×7, first 2 shown]
	global_wb scope:SCOPE_SE
	s_wait_dscnt 0x0
	s_barrier_signal -1
	s_barrier_wait -1
	global_inv scope:SCOPE_SE
	ds_store_2addr_b64 v178, v[88:89], v[92:93] offset1:1
	ds_store_2addr_b64 v178, v[90:91], v[94:95] offset0:2 offset1:3
	ds_store_2addr_b64 v180, v[72:73], v[62:63] offset1:1
	ds_store_2addr_b64 v181, v[86:87], v[60:61] offset1:1
	;; [unrolled: 1-line block ×4, first 2 shown]
	v_mul_lo_u16 v48, v148, 5
	v_lshrrev_b16 v147, 10, v84
	v_add_nc_u32_e32 v137, 0xfa, v184
	ds_store_b64 v178, v[98:99] offset:32
	ds_store_b64 v178, v[78:79] offset:5032
	;; [unrolled: 1-line block ×4, first 2 shown]
	v_sub_nc_u16 v48, v184, v48
	v_mul_lo_u16 v49, v147, 5
	v_and_b32_e32 v141, 0xffff, v137
	ds_store_2addr_b64 v124, v[54:55], v[50:51] offset1:1
	ds_store_2addr_b64 v125, v[76:77], v[80:81] offset1:1
	;; [unrolled: 1-line block ×4, first 2 shown]
	ds_store_b64 v178, v[52:53] offset:20032
	v_and_b32_e32 v145, 0xff, v48
	v_sub_nc_u16 v48, v136, v49
	v_mul_u32_u24_e32 v56, 0xcccd, v141
	v_add_nc_u32_e32 v138, 0x177, v184
	global_wb scope:SCOPE_SE
	s_wait_dscnt 0x0
	v_lshlrev_b32_e32 v64, 6, v145
	v_and_b32_e32 v146, 0xff, v48
	s_barrier_signal -1
	s_barrier_wait -1
	global_inv scope:SCOPE_SE
	s_clause 0x1
	global_load_b128 v[52:55], v64, s[8:9] offset:16
	global_load_b128 v[108:111], v64, s[8:9]
	v_lshlrev_b32_e32 v65, 6, v146
	v_lshrrev_b32_e32 v150, 18, v56
	v_and_b32_e32 v142, 0xffff, v138
	v_add_nc_u32_e32 v139, 0x1f4, v184
	s_clause 0x4
	global_load_b128 v[60:63], v64, s[8:9] offset:48
	global_load_b128 v[104:107], v64, s[8:9] offset:32
	;; [unrolled: 1-line block ×3, first 2 shown]
	global_load_b128 v[112:115], v65, s[8:9]
	global_load_b128 v[56:59], v65, s[8:9] offset:48
	v_mul_lo_u16 v66, v150, 5
	v_mul_u32_u24_e32 v67, 0xcccd, v142
	v_and_b32_e32 v140, 0xffff, v139
	v_and_b32_e32 v148, 0xffff, v148
	;; [unrolled: 1-line block ×3, first 2 shown]
	v_sub_nc_u16 v66, v137, v66
	v_lshrrev_b32_e32 v167, 18, v67
	v_mul_u32_u24_e32 v67, 0xcccd, v140
	v_mul_u32_u24_e32 v175, 0xc8, v148
	;; [unrolled: 1-line block ×3, first 2 shown]
	v_and_b32_e32 v151, 0xffff, v66
	v_mul_lo_u16 v66, v167, 5
	v_lshrrev_b32_e32 v159, 18, v67
	v_mul_u32_u24_e32 v167, 0xc8, v167
	s_delay_alu instid0(VALU_DEP_4) | instskip(NEXT) | instid1(VALU_DEP_4)
	v_lshlrev_b32_e32 v68, 6, v151
	v_sub_nc_u16 v66, v138, v66
	s_delay_alu instid0(VALU_DEP_4)
	v_mul_lo_u16 v64, v159, 5
	s_clause 0x1
	global_load_b128 v[92:95], v68, s[8:9]
	global_load_b128 v[76:79], v65, s[8:9] offset:32
	v_and_b32_e32 v158, 0xffff, v66
	v_sub_nc_u16 v69, v139, v64
	s_clause 0x1
	global_load_b128 v[84:87], v68, s[8:9] offset:32
	global_load_b128 v[88:91], v68, s[8:9] offset:16
	v_mul_u32_u24_e32 v225, 0xc8, v159
	v_lshlrev_b32_e32 v96, 6, v158
	v_and_b32_e32 v149, 0xffff, v69
	s_clause 0x1
	global_load_b128 v[64:67], v96, s[8:9] offset:16
	global_load_b128 v[80:83], v68, s[8:9] offset:48
	v_lshlrev_b32_e32 v124, 6, v149
	s_clause 0x6
	global_load_b128 v[68:71], v96, s[8:9] offset:48
	global_load_b128 v[72:75], v96, s[8:9]
	global_load_b128 v[100:103], v124, s[8:9]
	global_load_b128 v[96:99], v96, s[8:9] offset:32
	global_load_b128 v[116:119], v124, s[8:9] offset:16
	;; [unrolled: 1-line block ×4, first 2 shown]
	ds_load_2addr_b64 v[160:163], v157 offset0:98 offset1:223
	ds_load_2addr_b64 v[169:172], v155 offset0:68 offset1:193
	;; [unrolled: 1-line block ×3, first 2 shown]
	v_lshlrev_b32_e32 v159, 3, v151
	v_lshlrev_b32_e32 v158, 3, v158
	ds_load_2addr_b64 v[185:188], v135 offset0:86 offset1:211
	ds_load_2addr_b64 v[189:192], v168 offset0:80 offset1:205
	s_wait_loadcnt_dscnt 0x1304
	v_mul_f64_e32 v[165:166], v[160:161], v[54:55]
	v_mul_f64_e32 v[173:174], v[32:33], v[54:55]
	v_mul_u32_u24_e32 v54, 0xc8, v147
	s_wait_loadcnt_dscnt 0x1103
	v_mul_f64_e32 v[211:212], v[169:170], v[62:63]
	v_mul_f64_e32 v[62:63], v[36:37], v[62:63]
	s_wait_loadcnt 0xf
	v_mul_f64_e32 v[182:183], v[162:163], v[50:51]
	v_mul_f64_e32 v[209:210], v[34:35], v[50:51]
	v_lshlrev_b32_e32 v50, 3, v145
	v_lshlrev_b32_e32 v51, 3, v146
	s_wait_loadcnt 0xd
	v_mul_f64_e32 v[150:151], v[171:172], v[58:59]
	v_mul_f64_e32 v[58:59], v[38:39], v[58:59]
	ds_load_2addr_b64 v[145:148], v130 offset0:116 offset1:241
	v_add3_u32 v55, 0, v175, v50
	v_add3_u32 v54, 0, v54, v51
	;; [unrolled: 1-line block ×4, first 2 shown]
	s_wait_dscnt 0x3
	v_mul_f64_e32 v[158:159], v[178:179], v[114:115]
	v_mul_f64_e32 v[114:115], v[28:29], v[114:115]
	ds_load_2addr_b64 v[193:196], v132 offset0:92 offset1:217
	ds_load_2addr_b64 v[197:200], v131 offset0:62 offset1:187
	;; [unrolled: 1-line block ×4, first 2 shown]
	ds_load_b64 v[215:216], v154 offset:24000
	s_wait_dscnt 0x7
	v_mul_f64_e32 v[213:214], v[187:188], v[106:107]
	v_mul_f64_e32 v[106:107], v[6:7], v[106:107]
	s_wait_loadcnt 0xc
	v_mul_f64_e32 v[219:220], v[180:181], v[94:95]
	s_wait_loadcnt_dscnt 0xb06
	v_mul_f64_e32 v[221:222], v[189:190], v[78:79]
	v_mul_f64_e32 v[94:95], v[30:31], v[94:95]
	;; [unrolled: 1-line block ×3, first 2 shown]
	s_wait_dscnt 0x5
	v_mul_f64_e32 v[217:218], v[147:148], v[110:111]
	v_mul_f64_e32 v[110:111], v[10:11], v[110:111]
	v_fma_f64 v[165:166], v[32:33], v[52:53], v[165:166]
	v_fma_f64 v[52:53], v[160:161], v[52:53], -v[173:174]
	s_wait_loadcnt 0xa
	v_mul_f64_e32 v[160:161], v[191:192], v[86:87]
	v_mul_f64_e32 v[86:87], v[26:27], v[86:87]
	s_wait_loadcnt_dscnt 0x703
	v_mul_f64_e32 v[223:224], v[197:198], v[82:83]
	v_mul_f64_e32 v[82:83], v[16:17], v[82:83]
	v_fma_f64 v[36:37], v[36:37], v[60:61], v[211:212]
	v_fma_f64 v[60:61], v[169:170], v[60:61], -v[62:63]
	v_fma_f64 v[173:174], v[34:35], v[48:49], v[182:183]
	v_mul_f64_e32 v[182:183], v[193:194], v[90:91]
	v_fma_f64 v[162:163], v[162:163], v[48:49], -v[209:210]
	v_mul_f64_e32 v[209:210], v[195:196], v[66:67]
	v_fma_f64 v[38:39], v[38:39], v[56:57], v[150:151]
	v_fma_f64 v[56:57], v[171:172], v[56:57], -v[58:59]
	s_wait_loadcnt_dscnt 0x402
	v_mul_f64_e32 v[58:59], v[203:204], v[102:103]
	s_wait_loadcnt_dscnt 0x301
	v_mul_f64_e32 v[169:170], v[205:206], v[98:99]
	s_wait_loadcnt 0x2
	v_mul_f64_e32 v[171:172], v[185:186], v[118:119]
	s_wait_loadcnt 0x1
	v_mul_f64_e32 v[211:212], v[207:208], v[122:123]
	v_mul_f64_e32 v[66:67], v[22:23], v[66:67]
	v_fma_f64 v[158:159], v[28:29], v[112:113], v[158:159]
	v_fma_f64 v[112:113], v[178:179], v[112:113], -v[114:115]
	s_wait_loadcnt_dscnt 0x0
	v_mul_f64_e32 v[114:115], v[215:216], v[126:127]
	v_mul_f64_e32 v[62:63], v[199:200], v[70:71]
	v_mul_f64_e32 v[70:71], v[18:19], v[70:71]
	v_mul_f64_e32 v[150:151], v[201:202], v[74:75]
	v_mul_f64_e32 v[74:75], v[44:45], v[74:75]
	v_fma_f64 v[6:7], v[6:7], v[104:105], v[213:214]
	v_fma_f64 v[104:105], v[187:188], v[104:105], -v[106:107]
	v_mul_f64_e32 v[106:107], v[4:5], v[118:119]
	v_mul_f64_e32 v[98:99], v[40:41], v[98:99]
	;; [unrolled: 1-line block ×3, first 2 shown]
	v_fma_f64 v[24:25], v[24:25], v[76:77], v[221:222]
	v_mul_f64_e32 v[102:103], v[46:47], v[102:103]
	v_mul_f64_e32 v[118:119], v[128:129], v[126:127]
	v_fma_f64 v[10:11], v[10:11], v[108:109], v[217:218]
	v_fma_f64 v[108:109], v[147:148], v[108:109], -v[110:111]
	v_mul_f64_e32 v[110:111], v[42:43], v[122:123]
	v_fma_f64 v[122:123], v[30:31], v[92:93], v[219:220]
	v_fma_f64 v[92:93], v[180:181], v[92:93], -v[94:95]
	v_fma_f64 v[76:77], v[189:190], v[76:77], -v[78:79]
	v_fma_f64 v[26:27], v[26:27], v[84:85], v[160:161]
	v_fma_f64 v[78:79], v[191:192], v[84:85], -v[86:87]
	v_fma_f64 v[16:17], v[16:17], v[80:81], v[223:224]
	v_fma_f64 v[80:81], v[197:198], v[80:81], -v[82:83]
	v_lshlrev_b32_e32 v28, 3, v149
	ds_load_2addr_b64 v[32:35], v156 offset0:122 offset1:247
	v_mul_lo_u16 v49, v144, 41
	v_fma_f64 v[20:21], v[20:21], v[88:89], v[182:183]
	v_fma_f64 v[22:23], v[22:23], v[64:65], v[209:210]
	v_add3_u32 v48, 0, v225, v28
	ds_load_2addr_b64 v[28:31], v154 offset1:125
	v_fma_f64 v[46:47], v[46:47], v[100:101], v[58:59]
	v_fma_f64 v[40:41], v[40:41], v[96:97], v[169:170]
	;; [unrolled: 1-line block ×4, first 2 shown]
	global_wb scope:SCOPE_SE
	s_wait_dscnt 0x0
	s_barrier_signal -1
	s_barrier_wait -1
	v_fma_f64 v[58:59], v[128:129], v[124:125], v[114:115]
	v_fma_f64 v[18:19], v[18:19], v[68:69], v[62:63]
	v_fma_f64 v[62:63], v[195:196], v[64:65], -v[66:67]
	v_fma_f64 v[44:45], v[44:45], v[72:73], v[150:151]
	v_fma_f64 v[64:65], v[199:200], v[68:69], -v[70:71]
	v_fma_f64 v[66:67], v[201:202], v[72:73], -v[74:75]
	v_add_f64_e32 v[94:95], v[165:166], v[6:7]
	v_fma_f64 v[70:71], v[185:186], v[116:117], -v[106:107]
	v_fma_f64 v[72:73], v[205:206], v[96:97], -v[98:99]
	v_add_f64_e32 v[114:115], v[158:159], v[38:39]
	v_fma_f64 v[84:85], v[193:194], v[88:89], -v[90:91]
	v_add_f64_e64 v[88:89], v[36:37], -v[6:7]
	v_add_f64_e64 v[98:99], v[52:53], -v[104:105]
	v_add_f64_e32 v[106:107], v[10:11], v[36:37]
	v_add_f64_e64 v[86:87], v[10:11], -v[165:166]
	v_fma_f64 v[74:75], v[207:208], v[120:121], -v[110:111]
	v_add_f64_e32 v[110:111], v[173:174], v[24:25]
	v_add_f64_e32 v[169:170], v[0:1], v[122:123]
	;; [unrolled: 1-line block ×4, first 2 shown]
	v_fma_f64 v[68:69], v[203:204], v[100:101], -v[102:103]
	v_add_f64_e32 v[178:179], v[122:123], v[16:17]
	v_fma_f64 v[82:83], v[215:216], v[124:125], -v[118:119]
	v_add_f64_e64 v[96:97], v[108:109], -v[60:61]
	v_add_f64_e64 v[126:127], v[162:163], -v[76:77]
	;; [unrolled: 1-line block ×3, first 2 shown]
	v_add_f64_e32 v[171:172], v[20:21], v[26:27]
	v_add_f64_e64 v[149:150], v[122:123], -v[20:21]
	v_add_f64_e64 v[193:194], v[20:21], -v[122:123]
	;; [unrolled: 1-line block ×5, first 2 shown]
	v_add_f64_e32 v[180:181], v[22:23], v[40:41]
	v_add_f64_e64 v[229:230], v[4:5], -v[46:47]
	v_add_f64_e32 v[189:190], v[4:5], v[42:43]
	v_add_f64_e64 v[221:222], v[46:47], -v[4:5]
	v_add_f64_e64 v[128:129], v[173:174], -v[158:159]
	;; [unrolled: 1-line block ×3, first 2 shown]
	v_add_f64_e32 v[191:192], v[46:47], v[58:59]
	v_add_f64_e64 v[217:218], v[40:41], -v[18:19]
	v_add_f64_e64 v[231:232], v[42:43], -v[58:59]
	v_add_f64_e32 v[182:183], v[44:45], v[18:19]
	v_add_f64_e64 v[215:216], v[22:23], -v[44:45]
	v_add_f64_e64 v[223:224], v[58:59], -v[42:43]
	v_fma_f64 v[94:95], v[94:95], -0.5, v[12:13]
	v_add_f64_e32 v[197:198], v[2:3], v[44:45]
	v_add_f64_e64 v[211:212], v[66:67], -v[64:65]
	v_add_f64_e32 v[219:220], v[8:9], v[46:47]
	v_add_f64_e64 v[187:188], v[84:85], -v[78:79]
	;; [unrolled: 2-line block ×3, first 2 shown]
	v_fma_f64 v[12:13], v[106:107], -0.5, v[12:13]
	v_add_f64_e32 v[86:87], v[86:87], v[88:89]
	v_add_f64_e64 v[88:89], v[20:21], -v[26:27]
	v_fma_f64 v[106:107], v[110:111], -0.5, v[14:15]
	v_fma_f64 v[14:15], v[114:115], -0.5, v[14:15]
	v_add_f64_e32 v[110:111], v[62:63], v[72:73]
	v_add_f64_e32 v[114:115], v[66:67], v[64:65]
	;; [unrolled: 1-line block ×5, first 2 shown]
	v_add_f64_e64 v[213:214], v[62:63], -v[72:73]
	v_add_f64_e32 v[169:170], v[34:35], v[66:67]
	v_add_f64_e32 v[203:204], v[162:163], v[76:77]
	v_fma_f64 v[171:172], v[171:172], -0.5, v[0:1]
	v_fma_f64 v[0:1], v[178:179], -0.5, v[0:1]
	v_add_f64_e32 v[205:206], v[112:113], v[56:57]
	v_add_f64_e64 v[225:226], v[68:69], -v[82:83]
	v_add_f64_e64 v[227:228], v[70:71], -v[74:75]
	v_add_f64_e32 v[116:117], v[116:117], v[173:174]
	v_fma_f64 v[178:179], v[180:181], -0.5, v[2:3]
	v_add_f64_e64 v[180:181], v[108:109], -v[52:53]
	v_fma_f64 v[189:190], v[189:190], -0.5, v[8:9]
	v_add_f64_e32 v[149:150], v[149:150], v[160:161]
	v_add_f64_e32 v[193:194], v[193:194], v[195:196]
	v_add_f64_e64 v[100:101], v[165:166], -v[10:11]
	v_fma_f64 v[8:9], v[191:192], -0.5, v[8:9]
	v_add_f64_e32 v[191:192], v[28:29], v[108:109]
	v_add_f64_e64 v[108:109], v[52:53], -v[108:109]
	v_fma_f64 v[2:3], v[182:183], -0.5, v[2:3]
	v_add_f64_e64 v[102:103], v[6:7], -v[36:37]
	v_add_f64_e64 v[118:119], v[158:159], -v[173:174]
	v_fma_f64 v[160:161], v[96:97], s[12:13], v[94:95]
	v_fma_f64 v[94:95], v[96:97], s[14:15], v[94:95]
	v_add_f64_e64 v[120:121], v[38:39], -v[24:25]
	v_add_f64_e32 v[215:216], v[215:216], v[217:218]
	v_add_f64_e32 v[229:230], v[229:230], v[231:232]
	;; [unrolled: 1-line block ×5, first 2 shown]
	v_add_f64_e64 v[207:208], v[44:45], -v[22:23]
	v_add_f64_e64 v[209:210], v[18:19], -v[40:41]
	v_fma_f64 v[217:218], v[124:125], s[12:13], v[106:107]
	v_fma_f64 v[195:196], v[126:127], s[14:15], v[14:15]
	v_fma_f64 v[110:111], v[110:111], -0.5, v[34:35]
	v_fma_f64 v[34:35], v[114:115], -0.5, v[34:35]
	v_fma_f64 v[114:115], v[98:99], s[14:15], v[12:13]
	v_fma_f64 v[12:13], v[98:99], s[12:13], v[12:13]
	;; [unrolled: 1-line block ×4, first 2 shown]
	v_add_f64_e32 v[128:129], v[128:129], v[147:148]
	v_add_f64_e32 v[147:148], v[32:33], v[92:93]
	v_fma_f64 v[231:232], v[185:186], s[12:13], v[171:172]
	v_fma_f64 v[223:224], v[187:188], s[14:15], v[0:1]
	;; [unrolled: 1-line block ×4, first 2 shown]
	v_add_f64_e32 v[197:198], v[197:198], v[22:23]
	v_add_f64_e32 v[20:21], v[20:21], v[26:27]
	v_fma_f64 v[26:27], v[211:212], s[12:13], v[178:179]
	v_add_f64_e64 v[10:11], v[10:11], -v[36:37]
	v_add_f64_e64 v[233:234], v[165:166], -v[6:7]
	v_fma_f64 v[199:200], v[199:200], -0.5, v[28:29]
	v_add_f64_e32 v[6:7], v[90:91], v[6:7]
	v_add_f64_e32 v[90:91], v[145:146], v[68:69]
	;; [unrolled: 1-line block ×7, first 2 shown]
	v_fma_f64 v[28:29], v[201:202], -0.5, v[28:29]
	v_add_f64_e64 v[182:183], v[60:61], -v[104:105]
	v_fma_f64 v[178:179], v[211:212], s[14:15], v[178:179]
	v_fma_f64 v[201:202], v[203:204], -0.5, v[30:31]
	v_fma_f64 v[203:204], v[205:206], -0.5, v[30:31]
	v_add_f64_e32 v[30:31], v[30:31], v[112:113]
	v_add_f64_e64 v[158:159], v[158:159], -v[38:39]
	v_add_f64_e64 v[205:206], v[173:174], -v[24:25]
	v_add_f64_e32 v[24:25], v[116:117], v[24:25]
	v_fma_f64 v[160:161], v[98:99], s[4:5], v[160:161]
	v_fma_f64 v[94:95], v[98:99], s[10:11], v[94:95]
	;; [unrolled: 1-line block ×4, first 2 shown]
	v_add_f64_e32 v[100:101], v[100:101], v[102:103]
	v_fma_f64 v[189:190], v[225:226], s[14:15], v[189:190]
	v_fma_f64 v[114:115], v[96:97], s[4:5], v[114:115]
	;; [unrolled: 1-line block ×8, first 2 shown]
	v_add_f64_e32 v[118:119], v[118:119], v[120:121]
	v_fma_f64 v[217:218], v[126:127], s[4:5], v[217:218]
	v_fma_f64 v[106:107], v[126:127], s[10:11], v[106:107]
	;; [unrolled: 1-line block ×3, first 2 shown]
	v_add_f64_e64 v[122:123], v[122:123], -v[16:17]
	v_fma_f64 v[235:236], v[235:236], -0.5, v[32:33]
	v_fma_f64 v[32:33], v[237:238], -0.5, v[32:33]
	v_add_f64_e64 v[44:45], v[44:45], -v[18:19]
	v_add_f64_e64 v[22:23], v[22:23], -v[40:41]
	v_fma_f64 v[223:224], v[185:186], s[4:5], v[223:224]
	v_fma_f64 v[0:1], v[185:186], s[10:11], v[0:1]
	;; [unrolled: 1-line block ×3, first 2 shown]
	v_add_f64_e64 v[173:174], v[92:93], -v[84:85]
	v_add_f64_e64 v[92:93], v[84:85], -v[92:93]
	v_add_f64_e32 v[207:208], v[207:208], v[209:210]
	v_add_f64_e64 v[46:47], v[46:47], -v[58:59]
	v_add_f64_e32 v[84:85], v[147:148], v[84:85]
	v_fma_f64 v[147:148], v[191:192], -0.5, v[145:146]
	v_add_f64_e32 v[40:41], v[197:198], v[40:41]
	v_add_f64_e32 v[16:17], v[20:21], v[16:17]
	v_fma_f64 v[20:21], v[213:214], s[4:5], v[26:27]
	v_add_f64_e64 v[4:5], v[4:5], -v[42:43]
	v_fma_f64 v[145:146], v[239:240], -0.5, v[145:146]
	v_add_f64_e64 v[185:186], v[68:69], -v[70:71]
	v_add_f64_e64 v[68:69], v[70:71], -v[68:69]
	v_add_f64_e32 v[70:71], v[90:91], v[70:71]
	v_add_f64_e32 v[42:43], v[219:220], v[42:43]
	v_fma_f64 v[90:91], v[10:11], s[14:15], v[199:200]
	v_add_f64_e32 v[52:53], v[52:53], v[104:105]
	v_fma_f64 v[104:105], v[233:234], s[12:13], v[28:29]
	v_fma_f64 v[28:29], v[233:234], s[14:15], v[28:29]
	v_add_f64_e32 v[180:181], v[180:181], v[182:183]
	v_add_f64_e64 v[182:183], v[66:67], -v[62:63]
	v_fma_f64 v[26:27], v[211:212], s[4:5], v[96:97]
	v_fma_f64 v[2:3], v[211:212], s[10:11], v[2:3]
	v_add_f64_e64 v[66:67], v[62:63], -v[66:67]
	v_add_f64_e32 v[62:63], v[169:170], v[62:63]
	v_fma_f64 v[169:170], v[10:11], s[12:13], v[199:200]
	v_add_f64_e32 v[6:7], v[6:7], v[36:37]
	v_fma_f64 v[36:37], v[213:214], s[10:11], v[178:179]
	v_add_f64_e64 v[165:166], v[112:113], -v[162:163]
	v_add_f64_e64 v[102:103], v[56:57], -v[76:77]
	v_add_f64_e32 v[30:31], v[30:31], v[162:163]
	v_fma_f64 v[191:192], v[158:159], s[14:15], v[201:202]
	v_add_f64_e32 v[24:25], v[24:25], v[38:39]
	v_fma_f64 v[38:39], v[227:228], s[4:5], v[98:99]
	v_fma_f64 v[96:97], v[225:226], s[4:5], v[124:125]
	;; [unrolled: 1-line block ×13, first 2 shown]
	v_add_f64_e64 v[112:113], v[162:163], -v[112:113]
	v_add_f64_e64 v[120:121], v[76:77], -v[56:57]
	;; [unrolled: 1-line block ×6, first 2 shown]
	v_fma_f64 v[128:129], v[193:194], s[2:3], v[223:224]
	v_fma_f64 v[0:1], v[193:194], s[2:3], v[0:1]
	;; [unrolled: 1-line block ×14, first 2 shown]
	v_add_f64_e64 v[187:188], v[82:83], -v[74:75]
	v_fma_f64 v[203:204], v[46:47], s[14:15], v[147:148]
	v_fma_f64 v[147:148], v[46:47], s[12:13], v[147:148]
	v_add_f64_e32 v[18:19], v[40:41], v[18:19]
	v_fma_f64 v[20:21], v[207:208], s[2:3], v[20:21]
	v_add_f64_e64 v[162:163], v[74:75], -v[82:83]
	v_fma_f64 v[201:202], v[4:5], s[12:13], v[145:146]
	v_fma_f64 v[145:146], v[4:5], s[14:15], v[145:146]
	v_add_f64_e32 v[40:41], v[42:43], v[58:59]
	v_fma_f64 v[42:43], v[233:234], s[10:11], v[90:91]
	v_fma_f64 v[58:59], v[10:11], s[10:11], v[104:105]
	;; [unrolled: 1-line block ×7, first 2 shown]
	global_inv scope:SCOPE_SE
	v_fma_f64 v[38:39], v[221:222], s[2:3], v[38:39]
	ds_store_2addr_b64 v55, v[6:7], v[124:125] offset1:5
	ds_store_2addr_b64 v55, v[114:115], v[12:13] offset0:10 offset1:15
	ds_store_b64 v55, v[86:87] offset:160
	ds_store_2addr_b64 v54, v[24:25], v[94:95] offset1:5
	ds_store_2addr_b64 v54, v[100:101], v[14:15] offset0:10 offset1:15
	ds_store_b64 v54, v[106:107] offset:160
	;; [unrolled: 3-line block ×3, first 2 shown]
	v_add_f64_e32 v[6:7], v[165:166], v[102:103]
	v_add_f64_e32 v[16:17], v[30:31], v[76:77]
	v_fma_f64 v[24:25], v[205:206], s[10:11], v[191:192]
	v_fma_f64 v[90:91], v[229:230], s[2:3], v[96:97]
	;; [unrolled: 1-line block ×4, first 2 shown]
	v_add_f64_e32 v[12:13], v[112:113], v[120:121]
	v_add_f64_e32 v[14:15], v[173:174], v[237:238]
	v_fma_f64 v[76:77], v[158:159], s[10:11], v[171:172]
	v_fma_f64 v[86:87], v[158:159], s[4:5], v[178:179]
	;; [unrolled: 1-line block ×3, first 2 shown]
	v_add_f64_e32 v[78:79], v[84:85], v[78:79]
	v_add_f64_e32 v[84:85], v[92:93], v[209:210]
	v_fma_f64 v[92:93], v[122:123], s[10:11], v[195:196]
	v_fma_f64 v[32:33], v[122:123], s[4:5], v[32:33]
	v_add_f64_e32 v[98:99], v[182:183], v[116:117]
	v_fma_f64 v[100:101], v[22:23], s[10:11], v[197:198]
	v_fma_f64 v[22:23], v[22:23], s[4:5], v[110:111]
	v_add_f64_e32 v[62:63], v[62:63], v[72:73]
	v_add_f64_e32 v[66:67], v[66:67], v[126:127]
	v_fma_f64 v[72:73], v[44:45], s[10:11], v[199:200]
	v_fma_f64 v[34:35], v[44:45], s[4:5], v[34:35]
	v_fma_f64 v[30:31], v[205:206], s[4:5], v[160:161]
	v_fma_f64 v[88:89], v[88:89], s[4:5], v[193:194]
	v_add_f64_e32 v[102:103], v[185:186], v[187:188]
	v_add_f64_e32 v[44:45], v[70:71], v[74:75]
	v_fma_f64 v[74:75], v[4:5], s[10:11], v[203:204]
	ds_store_2addr_b64 v50, v[18:19], v[20:21] offset1:5
	v_fma_f64 v[18:19], v[4:5], s[4:5], v[147:148]
	v_add_f64_e32 v[68:69], v[68:69], v[162:163]
	v_fma_f64 v[70:71], v[46:47], s[10:11], v[201:202]
	v_fma_f64 v[46:47], v[46:47], s[4:5], v[145:146]
	v_add_f64_e32 v[52:53], v[52:53], v[60:61]
	v_fma_f64 v[60:61], v[180:181], s[2:3], v[42:43]
	ds_store_2addr_b64 v50, v[26:27], v[2:3] offset0:10 offset1:15
	ds_store_b64 v50, v[36:37] offset:160
	ds_store_2addr_b64 v48, v[40:41], v[38:39] offset1:5
	ds_store_2addr_b64 v48, v[90:91], v[8:9] offset0:10 offset1:15
	ds_store_b64 v48, v[96:97] offset:160
	v_fma_f64 v[58:59], v[108:109], s[2:3], v[58:59]
	v_fma_f64 v[90:91], v[108:109], s[2:3], v[10:11]
	;; [unrolled: 1-line block ×3, first 2 shown]
	v_add_f64_e32 v[56:57], v[16:17], v[56:57]
	v_fma_f64 v[104:105], v[6:7], s[2:3], v[24:25]
	v_lshrrev_b16 v144, 10, v49
	v_fma_f64 v[76:77], v[12:13], s[2:3], v[76:77]
	v_fma_f64 v[86:87], v[12:13], s[2:3], v[86:87]
	global_wb scope:SCOPE_SE
	s_wait_dscnt 0x0
	v_add_f64_e32 v[78:79], v[78:79], v[80:81]
	v_fma_f64 v[80:81], v[14:15], s[2:3], v[94:95]
	v_fma_f64 v[92:93], v[84:85], s[2:3], v[92:93]
	;; [unrolled: 1-line block ×3, first 2 shown]
	v_mul_lo_u16 v49, v144, 25
	s_barrier_signal -1
	v_fma_f64 v[94:95], v[98:99], s[2:3], v[22:23]
	v_add_f64_e32 v[62:63], v[62:63], v[64:65]
	v_fma_f64 v[64:65], v[98:99], s[2:3], v[100:101]
	v_fma_f64 v[72:73], v[66:67], s[2:3], v[72:73]
	;; [unrolled: 1-line block ×5, first 2 shown]
	s_barrier_wait -1
	v_add_f64_e32 v[82:83], v[44:45], v[82:83]
	v_fma_f64 v[74:75], v[102:103], s[2:3], v[74:75]
	global_inv scope:SCOPE_SE
	v_fma_f64 v[98:99], v[102:103], s[2:3], v[18:19]
	ds_load_b64 v[128:129], v154 offset:24000
	ds_load_2addr_b64 v[0:3], v154 offset1:125
	v_fma_f64 v[70:71], v[68:69], s[2:3], v[70:71]
	v_fma_f64 v[68:69], v[68:69], s[2:3], v[46:47]
	ds_load_2addr_b64 v[4:7], v130 offset0:116 offset1:241
	ds_load_2addr_b64 v[44:47], v157 offset0:98 offset1:223
	;; [unrolled: 1-line block ×11, first 2 shown]
	global_wb scope:SCOPE_SE
	s_wait_dscnt 0x0
	s_barrier_signal -1
	s_barrier_wait -1
	global_inv scope:SCOPE_SE
	ds_store_2addr_b64 v55, v[52:53], v[60:61] offset1:5
	ds_store_2addr_b64 v55, v[58:59], v[90:91] offset0:10 offset1:15
	ds_store_b64 v55, v[96:97] offset:160
	ds_store_2addr_b64 v54, v[56:57], v[104:105] offset1:5
	v_mul_lo_u16 v52, v143, 41
	v_sub_nc_u16 v49, v184, v49
	ds_store_2addr_b64 v54, v[76:77], v[86:87] offset0:10 offset1:15
	ds_store_b64 v54, v[106:107] offset:160
	ds_store_2addr_b64 v51, v[78:79], v[80:81] offset1:5
	v_lshrrev_b16 v145, 10, v52
	v_and_b32_e32 v143, 0xff, v49
	v_mul_u32_u24_e32 v49, 0x47af, v141
	ds_store_2addr_b64 v51, v[92:93], v[84:85] offset0:10 offset1:15
	ds_store_b64 v51, v[88:89] offset:160
	ds_store_2addr_b64 v50, v[62:63], v[64:65] offset1:5
	ds_store_2addr_b64 v50, v[72:73], v[66:67] offset0:10 offset1:15
	ds_store_b64 v50, v[94:95] offset:160
	v_mul_lo_u16 v50, v145, 25
	v_lshrrev_b32_e32 v49, 16, v49
	ds_store_2addr_b64 v48, v[82:83], v[74:75] offset1:5
	ds_store_2addr_b64 v48, v[70:71], v[68:69] offset0:10 offset1:15
	ds_store_b64 v48, v[98:99] offset:160
	v_lshlrev_b32_e32 v56, 6, v143
	v_sub_nc_u16 v48, v136, v50
	v_sub_nc_u16 v50, v137, v49
	global_wb scope:SCOPE_SE
	s_wait_dscnt 0x0
	s_barrier_signal -1
	s_barrier_wait -1
	v_and_b32_e32 v146, 0xff, v48
	v_mul_u32_u24_e32 v48, 0x47af, v142
	v_lshrrev_b16 v50, 1, v50
	global_inv scope:SCOPE_SE
	s_clause 0x1
	global_load_b128 v[52:55], v56, s[8:9] offset:336
	global_load_b128 v[100:103], v56, s[8:9] offset:320
	v_lshrrev_b32_e32 v58, 16, v48
	v_add_nc_u16 v59, v50, v49
	v_lshlrev_b32_e32 v57, 6, v146
	s_clause 0x1
	global_load_b128 v[112:115], v56, s[8:9] offset:368
	global_load_b128 v[96:99], v56, s[8:9] offset:352
	v_sub_nc_u16 v60, v138, v58
	v_lshrrev_b16 v148, 4, v59
	v_mul_u32_u24_e32 v59, 0x47af, v140
	s_clause 0x1
	global_load_b128 v[48:51], v57, s[8:9] offset:336
	global_load_b128 v[108:111], v57, s[8:9] offset:320
	v_lshrrev_b16 v60, 1, v60
	v_mul_lo_u16 v61, v148, 25
	v_lshrrev_b32_e32 v59, 16, v59
	global_load_b128 v[104:107], v57, s[8:9] offset:368
	v_and_b32_e32 v144, 0xffff, v144
	v_add_nc_u16 v58, v60, v58
	v_sub_nc_u16 v60, v137, v61
	v_sub_nc_u16 v61, v139, v59
	v_and_b32_e32 v145, 0xffff, v145
	v_mul_u32_u24_e32 v175, 0x3e8, v144
	v_lshrrev_b16 v167, 4, v58
	v_and_b32_e32 v149, 0xffff, v60
	v_lshrrev_b16 v58, 1, v61
	v_mul_u32_u24_e32 v178, 0x3e8, v145
	v_lshlrev_b32_e32 v179, 3, v143
	v_mul_lo_u16 v60, v167, 25
	v_lshlrev_b32_e32 v61, 6, v149
	v_add_nc_u16 v58, v58, v59
	s_clause 0x1
	global_load_b128 v[84:87], v61, s[8:9] offset:320
	global_load_b128 v[68:71], v57, s[8:9] offset:352
	v_lshrrev_b16 v151, 4, v58
	v_sub_nc_u16 v59, v138, v60
	s_clause 0x1
	global_load_b128 v[80:83], v61, s[8:9] offset:352
	global_load_b128 v[72:75], v61, s[8:9] offset:336
	v_lshlrev_b32_e32 v180, 3, v146
	v_mul_lo_u16 v56, v151, 25
	v_and_b32_e32 v150, 0xffff, v59
	v_and_b32_e32 v148, 0xffff, v148
	;; [unrolled: 1-line block ×3, first 2 shown]
	v_lshlrev_b32_e32 v222, 3, v149
	v_sub_nc_u16 v60, v139, v56
	v_lshlrev_b32_e32 v88, 6, v150
	s_clause 0x1
	global_load_b128 v[56:59], v88, s[8:9] offset:336
	global_load_b128 v[76:79], v61, s[8:9] offset:368
	v_and_b32_e32 v147, 0xffff, v60
	global_load_b128 v[60:63], v88, s[8:9] offset:368
	v_mul_u32_u24_e32 v221, 0x3e8, v151
	v_lshlrev_b32_e32 v223, 3, v150
	v_and_b32_e32 v167, 0xffff, v167
	v_lshlrev_b32_e32 v124, 6, v147
	s_clause 0x5
	global_load_b128 v[64:67], v88, s[8:9] offset:320
	global_load_b128 v[92:95], v124, s[8:9] offset:320
	;; [unrolled: 1-line block ×6, first 2 shown]
	ds_load_2addr_b64 v[158:161], v157 offset0:98 offset1:223
	ds_load_2addr_b64 v[169:172], v155 offset0:68 offset1:193
	;; [unrolled: 1-line block ×5, first 2 shown]
	v_mul_u32_u24_e32 v167, 0x3e8, v167
	s_wait_loadcnt_dscnt 0x1304
	v_mul_f64_e32 v[162:163], v[158:159], v[54:55]
	v_mul_f64_e32 v[165:166], v[44:45], v[54:55]
	v_add3_u32 v55, 0, v175, v179
	v_add3_u32 v54, 0, v178, v180
	ds_load_2addr_b64 v[178:181], v135 offset0:86 offset1:211
	s_wait_loadcnt_dscnt 0x1104
	v_mul_f64_e32 v[182:183], v[169:170], v[114:115]
	v_mul_f64_e32 v[114:115], v[40:41], v[114:115]
	v_mul_u32_u24_e32 v175, 0x3e8, v148
	ds_load_2addr_b64 v[148:151], v132 offset0:92 offset1:217
	ds_load_2addr_b64 v[193:196], v131 offset0:62 offset1:187
	;; [unrolled: 1-line block ×3, first 2 shown]
	s_wait_loadcnt 0xf
	v_mul_f64_e32 v[173:174], v[160:161], v[50:51]
	s_wait_loadcnt_dscnt 0xe06
	v_mul_f64_e32 v[207:208], v[143:144], v[110:111]
	v_mul_f64_e32 v[110:111], v[36:37], v[110:111]
	ds_load_2addr_b64 v[201:204], v134 offset0:74 offset1:199
	ds_load_b64 v[211:212], v154 offset:24000
	s_wait_dscnt 0x7
	v_mul_f64_e32 v[213:214], v[187:188], v[102:103]
	s_wait_loadcnt 0xd
	v_mul_f64_e32 v[205:206], v[171:172], v[106:107]
	v_mul_f64_e32 v[106:107], v[42:43], v[106:107]
	;; [unrolled: 1-line block ×4, first 2 shown]
	s_wait_dscnt 0x5
	v_mul_f64_e32 v[209:210], v[180:181], v[98:99]
	v_mul_f64_e32 v[98:99], v[14:15], v[98:99]
	s_wait_loadcnt 0xc
	v_mul_f64_e32 v[215:216], v[145:146], v[86:87]
	s_wait_loadcnt 0xb
	v_mul_f64_e32 v[217:218], v[189:190], v[70:71]
	v_mul_f64_e32 v[86:87], v[38:39], v[86:87]
	;; [unrolled: 1-line block ×3, first 2 shown]
	v_fma_f64 v[44:45], v[44:45], v[52:53], v[162:163]
	s_wait_loadcnt_dscnt 0x904
	v_mul_f64_e32 v[162:163], v[148:149], v[74:75]
	v_mul_f64_e32 v[74:75], v[28:29], v[74:75]
	v_fma_f64 v[52:53], v[158:159], v[52:53], -v[165:166]
	v_mul_f64_e32 v[158:159], v[191:192], v[82:83]
	v_fma_f64 v[182:183], v[40:41], v[112:113], v[182:183]
	v_fma_f64 v[112:113], v[169:170], v[112:113], -v[114:115]
	v_mul_f64_e32 v[82:83], v[34:35], v[82:83]
	v_fma_f64 v[46:47], v[46:47], v[48:49], v[173:174]
	v_fma_f64 v[207:208], v[36:37], v[108:109], v[207:208]
	s_wait_loadcnt_dscnt 0x703
	v_mul_f64_e32 v[173:174], v[193:194], v[78:79]
	v_mul_f64_e32 v[78:79], v[24:25], v[78:79]
	v_fma_f64 v[108:109], v[143:144], v[108:109], -v[110:111]
	v_fma_f64 v[169:170], v[42:43], v[104:105], v[205:206]
	v_fma_f64 v[104:105], v[171:172], v[104:105], -v[106:107]
	v_mul_f64_e32 v[165:166], v[150:151], v[58:59]
	s_wait_loadcnt_dscnt 0x402
	v_mul_f64_e32 v[106:107], v[199:200], v[94:95]
	s_wait_loadcnt_dscnt 0x301
	v_mul_f64_e32 v[171:172], v[201:202], v[90:91]
	s_wait_loadcnt 0x2
	v_mul_f64_e32 v[219:220], v[178:179], v[118:119]
	s_wait_loadcnt 0x1
	v_mul_f64_e32 v[110:111], v[203:204], v[122:123]
	s_wait_loadcnt_dscnt 0x0
	v_mul_f64_e32 v[143:144], v[211:212], v[126:127]
	v_mul_f64_e32 v[114:115], v[195:196], v[62:63]
	;; [unrolled: 1-line block ×7, first 2 shown]
	v_fma_f64 v[14:15], v[14:15], v[96:97], v[209:210]
	v_fma_f64 v[6:7], v[6:7], v[100:101], v[213:214]
	v_mul_f64_e32 v[94:95], v[22:23], v[94:95]
	v_fma_f64 v[96:97], v[180:181], v[96:97], -v[98:99]
	v_fma_f64 v[32:33], v[32:33], v[68:69], v[217:218]
	v_mul_f64_e32 v[98:99], v[12:13], v[118:119]
	v_fma_f64 v[100:101], v[187:188], v[100:101], -v[102:103]
	v_mul_f64_e32 v[102:103], v[18:19], v[122:123]
	v_fma_f64 v[122:123], v[38:39], v[84:85], v[215:216]
	v_mul_f64_e32 v[118:119], v[128:129], v[126:127]
	v_fma_f64 v[28:29], v[28:29], v[72:73], v[162:163]
	v_fma_f64 v[72:73], v[148:149], v[72:73], -v[74:75]
	v_fma_f64 v[160:161], v[160:161], v[48:49], -v[50:51]
	v_fma_f64 v[34:35], v[34:35], v[80:81], v[158:159]
	v_fma_f64 v[84:85], v[145:146], v[84:85], -v[86:87]
	v_fma_f64 v[68:69], v[189:190], v[68:69], -v[70:71]
	;; [unrolled: 1-line block ×3, first 2 shown]
	v_lshlrev_b32_e32 v36, 3, v147
	ds_load_2addr_b64 v[40:43], v156 offset0:122 offset1:247
	v_add3_u32 v50, 0, v175, v222
	v_add3_u32 v49, 0, v167, v223
	v_fma_f64 v[24:25], v[24:25], v[76:77], v[173:174]
	v_fma_f64 v[74:75], v[193:194], v[76:77], -v[78:79]
	v_add3_u32 v48, 0, v221, v36
	ds_load_2addr_b64 v[36:39], v154 offset1:125
	global_wb scope:SCOPE_SE
	s_wait_dscnt 0x0
	v_fma_f64 v[30:31], v[30:31], v[56:57], v[165:166]
	v_fma_f64 v[22:23], v[22:23], v[92:93], v[106:107]
	;; [unrolled: 1-line block ×8, first 2 shown]
	v_fma_f64 v[56:57], v[150:151], v[56:57], -v[58:59]
	v_fma_f64 v[58:59], v[195:196], v[60:61], -v[62:63]
	;; [unrolled: 1-line block ×4, first 2 shown]
	v_add_f64_e32 v[90:91], v[44:45], v[14:15]
	v_add_f64_e32 v[106:107], v[6:7], v[182:183]
	;; [unrolled: 1-line block ×3, first 2 shown]
	v_fma_f64 v[62:63], v[199:200], v[92:93], -v[94:95]
	v_add_f64_e32 v[110:111], v[46:47], v[32:33]
	v_fma_f64 v[64:65], v[178:179], v[116:117], -v[98:99]
	v_add_f64_e32 v[88:89], v[0:1], v[6:7]
	;; [unrolled: 2-line block ×4, first 2 shown]
	v_add_f64_e64 v[82:83], v[6:7], -v[44:45]
	v_add_f64_e64 v[86:87], v[182:183], -v[14:15]
	v_add_f64_e32 v[158:159], v[28:29], v[34:35]
	v_add_f64_e64 v[98:99], v[44:45], -v[6:7]
	v_add_f64_e64 v[102:103], v[14:15], -v[182:183]
	;; [unrolled: 1-line block ×4, first 2 shown]
	v_add_f64_e32 v[199:200], v[100:101], v[112:113]
	v_add_f64_e32 v[201:202], v[160:161], v[68:69]
	;; [unrolled: 1-line block ×7, first 2 shown]
	v_add_f64_e64 v[118:119], v[207:208], -v[46:47]
	v_add_f64_e64 v[120:121], v[169:170], -v[32:33]
	;; [unrolled: 1-line block ×3, first 2 shown]
	v_add_f64_e32 v[171:172], v[30:31], v[16:17]
	v_add_f64_e64 v[231:232], v[112:113], -v[96:97]
	v_add_f64_e32 v[187:188], v[12:13], v[18:19]
	v_add_f64_e32 v[189:190], v[22:23], v[76:77]
	v_add_f64_e64 v[145:146], v[122:123], -v[28:29]
	v_add_f64_e32 v[173:174], v[20:21], v[26:27]
	v_add_f64_e64 v[147:148], v[24:25], -v[34:35]
	v_add_f64_e64 v[178:179], v[28:29], -v[122:123]
	;; [unrolled: 1-line block ×3, first 2 shown]
	v_add_f64_e32 v[215:216], v[56:57], v[66:67]
	v_fma_f64 v[90:91], v[90:91], -0.5, v[0:1]
	v_fma_f64 v[0:1], v[106:107], -0.5, v[0:1]
	v_add_f64_e64 v[193:194], v[20:21], -v[30:31]
	v_add_f64_e64 v[195:196], v[26:27], -v[16:17]
	v_fma_f64 v[106:107], v[110:111], -0.5, v[2:3]
	v_fma_f64 v[2:3], v[114:115], -0.5, v[2:3]
	v_add_f64_e32 v[114:115], v[42:43], v[60:61]
	v_add_f64_e32 v[219:220], v[4:5], v[22:23]
	;; [unrolled: 1-line block ×3, first 2 shown]
	v_add_f64_e64 v[205:206], v[30:31], -v[20:21]
	v_add_f64_e64 v[209:210], v[16:17], -v[26:27]
	;; [unrolled: 1-line block ×4, first 2 shown]
	v_add_f64_e32 v[191:192], v[10:11], v[20:21]
	v_add_f64_e32 v[110:111], v[40:41], v[84:85]
	;; [unrolled: 1-line block ×3, first 2 shown]
	v_add_f64_e64 v[221:222], v[22:23], -v[12:13]
	v_add_f64_e64 v[223:224], v[76:77], -v[18:19]
	v_add_f64_e32 v[217:218], v[60:61], v[58:59]
	v_fma_f64 v[158:159], v[158:159], -0.5, v[8:9]
	v_add_f64_e64 v[92:93], v[100:101], -v[112:113]
	v_fma_f64 v[8:9], v[165:166], -0.5, v[8:9]
	v_add_f64_e64 v[94:95], v[52:53], -v[96:97]
	v_add_f64_e64 v[100:101], v[52:53], -v[100:101]
	v_fma_f64 v[197:198], v[197:198], -0.5, v[36:37]
	v_add_f64_e32 v[88:89], v[88:89], v[44:45]
	v_add_f64_e32 v[51:52], v[233:234], v[52:53]
	v_add_f64_e64 v[6:7], v[6:7], -v[182:183]
	v_fma_f64 v[165:166], v[171:172], -0.5, v[10:11]
	v_add_f64_e32 v[171:172], v[64:65], v[78:79]
	v_fma_f64 v[187:188], v[187:188], -0.5, v[4:5]
	v_fma_f64 v[4:5], v[189:190], -0.5, v[4:5]
	v_add_f64_e32 v[189:190], v[185:186], v[62:63]
	v_fma_f64 v[10:11], v[173:174], -0.5, v[10:11]
	v_add_f64_e32 v[173:174], v[62:63], v[80:81]
	v_add_f64_e64 v[124:125], v[108:109], -v[104:105]
	v_add_f64_e64 v[162:163], v[84:85], -v[74:75]
	;; [unrolled: 1-line block ×4, first 2 shown]
	v_fma_f64 v[36:37], v[199:200], -0.5, v[36:37]
	v_fma_f64 v[199:200], v[201:202], -0.5, v[38:39]
	;; [unrolled: 1-line block ×3, first 2 shown]
	v_add_f64_e64 v[203:204], v[68:69], -v[104:105]
	v_fma_f64 v[211:212], v[211:212], -0.5, v[40:41]
	v_fma_f64 v[40:41], v[213:214], -0.5, v[40:41]
	;; [unrolled: 1-line block ×3, first 2 shown]
	v_add_f64_e64 v[215:216], v[84:85], -v[72:73]
	v_add_f64_e64 v[84:85], v[72:73], -v[84:85]
	v_add_f64_e32 v[82:83], v[82:83], v[86:87]
	v_add_f64_e64 v[86:87], v[70:71], -v[74:75]
	v_add_f64_e32 v[98:99], v[98:99], v[102:103]
	;; [unrolled: 2-line block ×3, first 2 shown]
	v_add_f64_e64 v[143:144], v[58:59], -v[66:67]
	v_add_f64_e64 v[44:45], v[44:45], -v[14:15]
	v_add_f64_e32 v[118:119], v[118:119], v[120:121]
	v_add_f64_e64 v[120:121], v[56:57], -v[60:61]
	v_add_f64_e32 v[116:117], v[116:117], v[46:47]
	v_add_f64_e32 v[229:230], v[229:230], v[231:232]
	v_add_f64_e64 v[231:232], v[56:57], -v[66:67]
	v_add_f64_e64 v[207:208], v[207:208], -v[169:170]
	v_add_f64_e32 v[56:57], v[114:115], v[56:57]
	v_add_f64_e64 v[126:127], v[160:161], -v[68:69]
	v_add_f64_e32 v[145:146], v[145:146], v[147:148]
	;; [unrolled: 2-line block ×4, first 2 shown]
	v_add_f64_e64 v[195:196], v[64:65], -v[62:63]
	v_add_f64_e64 v[233:234], v[64:65], -v[78:79]
	;; [unrolled: 1-line block ×3, first 2 shown]
	v_add_f64_e32 v[64:65], v[189:190], v[64:65]
	v_add_f64_e32 v[149:150], v[149:150], v[28:29]
	;; [unrolled: 1-line block ×3, first 2 shown]
	v_add_f64_e64 v[209:210], v[80:81], -v[78:79]
	v_add_f64_e32 v[225:226], v[225:226], v[227:228]
	v_add_f64_e64 v[227:228], v[72:73], -v[70:71]
	v_add_f64_e64 v[60:61], v[60:61], -v[58:59]
	v_add_f64_e32 v[191:192], v[191:192], v[30:31]
	v_add_f64_e32 v[72:73], v[110:111], v[72:73]
	v_add_f64_e64 v[122:123], v[122:123], -v[24:25]
	v_add_f64_e32 v[160:161], v[237:238], v[160:161]
	v_add_f64_e32 v[221:222], v[221:222], v[223:224]
	v_add_f64_e64 v[223:224], v[78:79], -v[80:81]
	v_add_f64_e64 v[62:63], v[62:63], -v[80:81]
	;; [unrolled: 1-line block ×3, first 2 shown]
	v_add_f64_e32 v[219:220], v[219:220], v[12:13]
	v_fma_f64 v[42:43], v[217:218], -0.5, v[42:43]
	v_add_f64_e64 v[217:218], v[74:75], -v[70:71]
	v_add_f64_e64 v[28:29], v[28:29], -v[34:35]
	;; [unrolled: 1-line block ×5, first 2 shown]
	v_fma_f64 v[171:172], v[171:172], -0.5, v[185:186]
	v_add_f64_e64 v[12:13], v[12:13], -v[18:19]
	v_fma_f64 v[173:174], v[173:174], -0.5, v[185:186]
	v_add_f64_e64 v[235:236], v[96:97], -v[112:113]
	v_add_f64_e32 v[14:15], v[88:89], v[14:15]
	v_fma_f64 v[88:89], v[92:93], s[12:13], v[90:91]
	v_add_f64_e32 v[51:52], v[51:52], v[96:97]
	v_fma_f64 v[96:97], v[6:7], s[14:15], v[197:198]
	v_add_f64_e32 v[108:109], v[108:109], v[203:204]
	v_add_f64_e32 v[84:85], v[84:85], v[86:87]
	;; [unrolled: 1-line block ×3, first 2 shown]
	v_fma_f64 v[143:144], v[94:95], s[14:15], v[0:1]
	v_fma_f64 v[0:1], v[94:95], s[12:13], v[0:1]
	;; [unrolled: 1-line block ×6, first 2 shown]
	v_add_f64_e32 v[32:33], v[116:117], v[32:33]
	v_fma_f64 v[116:117], v[124:125], s[12:13], v[106:107]
	v_add_f64_e32 v[56:57], v[56:57], v[66:67]
	v_fma_f64 v[66:67], v[207:208], s[14:15], v[199:200]
	;; [unrolled: 2-line block ×3, first 2 shown]
	v_fma_f64 v[2:3], v[126:127], s[12:13], v[2:3]
	v_add_f64_e32 v[64:65], v[64:65], v[78:79]
	v_fma_f64 v[78:79], v[46:47], s[12:13], v[38:39]
	v_fma_f64 v[38:39], v[46:47], s[14:15], v[38:39]
	;; [unrolled: 1-line block ×3, first 2 shown]
	v_add_f64_e32 v[34:35], v[149:150], v[34:35]
	v_fma_f64 v[149:150], v[162:163], s[12:13], v[158:159]
	v_add_f64_e32 v[114:115], v[180:181], v[209:210]
	v_fma_f64 v[180:181], v[227:228], s[14:15], v[8:9]
	v_fma_f64 v[8:9], v[227:228], s[12:13], v[8:9]
	;; [unrolled: 1-line block ×4, first 2 shown]
	v_add_f64_e32 v[16:17], v[191:192], v[16:17]
	v_fma_f64 v[191:192], v[231:232], s[14:15], v[10:11]
	v_fma_f64 v[10:11], v[231:232], s[12:13], v[10:11]
	v_add_f64_e32 v[70:71], v[72:73], v[70:71]
	v_fma_f64 v[72:73], v[207:208], s[12:13], v[199:200]
	v_fma_f64 v[165:166], v[60:61], s[14:15], v[165:166]
	v_add_f64_e32 v[68:69], v[160:161], v[68:69]
	v_fma_f64 v[160:161], v[122:123], s[14:15], v[211:212]
	v_add_f64_e32 v[120:121], v[195:196], v[223:224]
	;; [unrolled: 2-line block ×3, first 2 shown]
	v_add_f64_e32 v[18:19], v[219:220], v[18:19]
	v_fma_f64 v[201:202], v[233:234], s[14:15], v[4:5]
	v_fma_f64 v[4:5], v[233:234], s[12:13], v[4:5]
	;; [unrolled: 1-line block ×3, first 2 shown]
	v_add_f64_e32 v[110:111], v[215:216], v[217:218]
	v_fma_f64 v[199:200], v[122:123], s[12:13], v[211:212]
	v_fma_f64 v[209:210], v[28:29], s[12:13], v[40:41]
	;; [unrolled: 1-line block ×13, first 2 shown]
	v_add_f64_e32 v[100:101], v[100:101], v[235:236]
	v_fma_f64 v[143:144], v[92:93], s[4:5], v[143:144]
	v_fma_f64 v[0:1], v[92:93], s[10:11], v[0:1]
	v_add_f64_e32 v[51:52], v[51:52], v[112:113]
	v_fma_f64 v[112:113], v[6:7], s[10:11], v[203:204]
	v_fma_f64 v[6:7], v[6:7], s[4:5], v[36:37]
	;; [unrolled: 1-line block ×12, first 2 shown]
	v_add_f64_e32 v[24:25], v[34:35], v[24:25]
	v_fma_f64 v[34:35], v[162:163], s[4:5], v[180:181]
	v_fma_f64 v[8:9], v[162:163], s[10:11], v[8:9]
	;; [unrolled: 1-line block ×4, first 2 shown]
	v_add_f64_e32 v[16:17], v[16:17], v[26:27]
	v_fma_f64 v[26:27], v[60:61], s[4:5], v[191:192]
	v_fma_f64 v[10:11], v[60:61], s[10:11], v[10:11]
	;; [unrolled: 1-line block ×6, first 2 shown]
	v_add_f64_e32 v[18:19], v[18:19], v[76:77]
	v_fma_f64 v[76:77], v[62:63], s[4:5], v[201:202]
	v_fma_f64 v[4:5], v[62:63], s[10:11], v[4:5]
	;; [unrolled: 1-line block ×14, first 2 shown]
	v_add_f64_e32 v[14:15], v[14:15], v[182:183]
	v_fma_f64 v[88:89], v[82:83], s[2:3], v[88:89]
	v_add_f64_e32 v[56:57], v[56:57], v[58:59]
	v_add_f64_e32 v[58:59], v[64:65], v[80:81]
	v_fma_f64 v[64:65], v[229:230], s[2:3], v[96:97]
	v_add_f64_e32 v[68:69], v[68:69], v[104:105]
	v_fma_f64 v[104:105], v[98:99], s[2:3], v[143:144]
	v_fma_f64 v[0:1], v[98:99], s[2:3], v[0:1]
	v_add_f64_e32 v[70:71], v[70:71], v[74:75]
	v_fma_f64 v[74:75], v[100:101], s[2:3], v[112:113]
	v_fma_f64 v[80:81], v[100:101], s[2:3], v[6:7]
	;; [unrolled: 1-line block ×4, first 2 shown]
	v_add_f64_e32 v[32:33], v[32:33], v[169:170]
	v_fma_f64 v[90:91], v[118:119], s[2:3], v[92:93]
	v_fma_f64 v[100:101], v[185:186], s[2:3], v[44:45]
	;; [unrolled: 1-line block ×32, first 2 shown]
	s_barrier_signal -1
	s_barrier_wait -1
	global_inv scope:SCOPE_SE
	ds_store_2addr_b64 v55, v[14:15], v[88:89] offset1:25
	ds_store_2addr_b64 v55, v[104:105], v[0:1] offset0:50 offset1:75
	ds_store_b64 v55, v[82:83] offset:800
	ds_store_2addr_b64 v54, v[32:33], v[90:91] offset1:25
	ds_store_2addr_b64 v54, v[92:93], v[2:3] offset0:50 offset1:75
	ds_store_b64 v54, v[94:95] offset:800
	;; [unrolled: 3-line block ×5, first 2 shown]
	global_wb scope:SCOPE_SE
	s_wait_dscnt 0x0
	s_barrier_signal -1
	s_barrier_wait -1
	global_inv scope:SCOPE_SE
	ds_load_b64 v[112:113], v154 offset:24000
	ds_load_2addr_b64 v[8:11], v154 offset1:125
	ds_load_2addr_b64 v[0:3], v130 offset0:116 offset1:241
	ds_load_2addr_b64 v[44:47], v157 offset0:98 offset1:223
	;; [unrolled: 1-line block ×11, first 2 shown]
	global_wb scope:SCOPE_SE
	s_wait_dscnt 0x0
	s_barrier_signal -1
	s_barrier_wait -1
	global_inv scope:SCOPE_SE
	ds_store_2addr_b64 v55, v[51:52], v[64:65] offset1:25
	ds_store_2addr_b64 v55, v[74:75], v[80:81] offset0:50 offset1:75
	ds_store_b64 v55, v[96:97] offset:800
	ds_store_2addr_b64 v54, v[68:69], v[100:101] offset1:25
	ds_store_2addr_b64 v54, v[66:67], v[108:109] offset0:50 offset1:75
	v_mul_u32_u24_e32 v51, 0x625, v141
	ds_store_b64 v54, v[124:125] offset:800
	ds_store_2addr_b64 v50, v[70:71], v[72:73] offset1:25
	ds_store_2addr_b64 v50, v[78:79], v[84:85] offset0:50 offset1:75
	ds_store_b64 v50, v[110:111] offset:800
	ds_store_2addr_b64 v49, v[56:57], v[122:123] offset1:25
	v_lshrrev_b32_e32 v52, 16, v51
	v_mul_u32_u24_e32 v51, 0x625, v142
	ds_store_2addr_b64 v49, v[126:127], v[102:103] offset0:50 offset1:75
	ds_store_b64 v49, v[86:87] offset:800
	v_lshlrev_b32_e32 v178, 2, v184
	v_sub_nc_u16 v53, v137, v52
	v_lshrrev_b32_e32 v54, 16, v51
	v_mov_b32_e32 v179, 0
	ds_store_2addr_b64 v48, v[58:59], v[143:144] offset1:25
	ds_store_2addr_b64 v48, v[128:129], v[120:121] offset0:50 offset1:75
	ds_store_b64 v48, v[114:115] offset:800
	global_wb scope:SCOPE_SE
	s_wait_dscnt 0x0
	v_lshrrev_b16 v49, 1, v53
	v_sub_nc_u16 v53, v138, v54
	v_lshlrev_b64_e32 v[50:51], 4, v[178:179]
	s_barrier_signal -1
	s_barrier_wait -1
	v_add_nc_u16 v48, v49, v52
	v_lshrrev_b16 v49, 1, v53
	global_inv scope:SCOPE_SE
	v_add_co_u32 v128, s0, s8, v50
	v_lshrrev_b16 v48, 6, v48
	v_add_nc_u16 v49, v49, v54
	v_mul_u32_u24_e32 v50, 0x625, v140
	s_wait_alu 0xf1ff
	v_add_co_ci_u32_e64 v129, s0, s9, v51, s0
	v_mul_lo_u16 v48, 0x7d, v48
	v_lshrrev_b16 v49, 6, v49
	v_lshrrev_b32_e32 v50, 16, v50
	s_clause 0x1
	global_load_b128 v[92:95], v[128:129], off offset:1936
	global_load_b128 v[84:87], v[128:129], off offset:1968
	v_sub_nc_u16 v48, v137, v48
	v_mul_lo_u16 v49, 0x7d, v49
	v_sub_nc_u16 v51, v139, v50
	s_delay_alu instid0(VALU_DEP_3) | instskip(NEXT) | instid1(VALU_DEP_3)
	v_and_b32_e32 v114, 0xffff, v48
	v_sub_nc_u16 v49, v138, v49
	s_delay_alu instid0(VALU_DEP_3) | instskip(NEXT) | instid1(VALU_DEP_3)
	v_lshrrev_b16 v51, 1, v51
	v_lshlrev_b32_e32 v68, 6, v114
	s_delay_alu instid0(VALU_DEP_3) | instskip(NEXT) | instid1(VALU_DEP_3)
	v_and_b32_e32 v115, 0xffff, v49
	v_add_nc_u16 v48, v51, v50
	v_lshl_add_u32 v114, v114, 3, 0
	s_delay_alu instid0(VALU_DEP_3) | instskip(NEXT) | instid1(VALU_DEP_3)
	v_lshlrev_b32_e32 v96, 6, v115
	v_lshrrev_b16 v52, 6, v48
	s_clause 0x4
	global_load_b128 v[88:91], v68, s[8:9] offset:1936
	global_load_b128 v[48:51], v96, s[8:9] offset:1936
	global_load_b128 v[72:75], v[128:129], off offset:1920
	global_load_b128 v[76:79], v[128:129], off offset:1952
	global_load_b128 v[64:67], v68, s[8:9] offset:1968
	v_mul_lo_u16 v52, 0x7d, v52
	global_load_b128 v[60:63], v96, s[8:9] offset:1920
	v_lshl_add_u32 v115, v115, 3, 0
	v_sub_nc_u16 v56, v139, v52
	global_load_b128 v[52:55], v96, s[8:9] offset:1968
	v_add_nc_u32_e32 v117, 0x3800, v115
	v_and_b32_e32 v116, 0xffff, v56
	s_delay_alu instid0(VALU_DEP_1)
	v_lshlrev_b32_e32 v108, 6, v116
	s_clause 0x6
	global_load_b128 v[56:59], v68, s[8:9] offset:1952
	global_load_b128 v[68:71], v68, s[8:9] offset:1920
	;; [unrolled: 1-line block ×7, first 2 shown]
	ds_load_2addr_b64 v[118:121], v157 offset0:98 offset1:223
	ds_load_2addr_b64 v[122:125], v155 offset0:68 offset1:193
	ds_load_2addr_b64 v[140:143], v132 offset0:92 offset1:217
	ds_load_2addr_b64 v[144:147], v135 offset0:86 offset1:211
	ds_load_2addr_b64 v[148:151], v130 offset0:116 offset1:241
	ds_load_2addr_b64 v[169:172], v168 offset0:80 offset1:205
	ds_load_2addr_b64 v[180:183], v164 offset0:110 offset1:235
	ds_load_2addr_b64 v[158:161], v131 offset0:62 offset1:187
	ds_load_2addr_b64 v[185:188], v133 offset0:104 offset1:229
	ds_load_2addr_b64 v[189:192], v134 offset0:74 offset1:199
	ds_load_b64 v[201:202], v154 offset:24000
	v_lshl_add_u32 v116, v116, 3, 0
	s_delay_alu instid0(VALU_DEP_1)
	v_add_nc_u32_e32 v167, 0x4c00, v116
	v_add_nc_u32_e32 v175, 0x5400, v116
	s_wait_loadcnt_dscnt 0xf0a
	v_mul_f64_e32 v[126:127], v[118:119], v[94:95]
	v_mul_f64_e32 v[162:163], v[120:121], v[94:95]
	;; [unrolled: 1-line block ×4, first 2 shown]
	s_wait_loadcnt_dscnt 0xe09
	v_mul_f64_e32 v[193:194], v[122:123], v[86:87]
	v_mul_f64_e32 v[195:196], v[124:125], v[86:87]
	;; [unrolled: 1-line block ×4, first 2 shown]
	v_add_nc_u32_e32 v94, 0x2400, v114
	v_add_nc_u32_e32 v95, 0x2c00, v114
	;; [unrolled: 1-line block ×3, first 2 shown]
	s_wait_loadcnt_dscnt 0xd08
	v_mul_f64_e32 v[203:204], v[140:141], v[90:91]
	v_mul_f64_e32 v[90:91], v[36:37], v[90:91]
	s_wait_loadcnt_dscnt 0xb06
	v_mul_f64_e32 v[207:208], v[150:151], v[74:75]
	s_wait_loadcnt 0xa
	v_mul_f64_e32 v[209:210], v[146:147], v[78:79]
	s_wait_dscnt 0x5
	v_mul_f64_e32 v[219:220], v[169:170], v[78:79]
	v_mul_f64_e32 v[213:214], v[2:3], v[74:75]
	;; [unrolled: 1-line block ×4, first 2 shown]
	s_wait_dscnt 0x4
	v_mul_f64_e32 v[221:222], v[180:181], v[74:75]
	v_mul_f64_e32 v[205:206], v[142:143], v[50:51]
	s_wait_loadcnt_dscnt 0x903
	v_mul_f64_e32 v[211:212], v[158:159], v[66:67]
	v_mul_f64_e32 v[66:67], v[32:33], v[66:67]
	s_wait_loadcnt 0x7
	v_mul_f64_e32 v[217:218], v[160:161], v[54:55]
	v_mul_f64_e32 v[74:75], v[24:25], v[74:75]
	s_wait_dscnt 0x2
	v_mul_f64_e32 v[223:224], v[185:186], v[62:63]
	v_mul_f64_e32 v[50:51], v[38:39], v[50:51]
	;; [unrolled: 1-line block ×4, first 2 shown]
	v_fma_f64 v[44:45], v[44:45], v[92:93], v[126:127]
	v_fma_f64 v[46:47], v[46:47], v[92:93], v[162:163]
	s_wait_loadcnt 0x6
	v_mul_f64_e32 v[126:127], v[171:172], v[58:59]
	s_wait_loadcnt 0x5
	v_mul_f64_e32 v[162:163], v[182:183], v[70:71]
	v_fma_f64 v[118:119], v[118:119], v[92:93], -v[165:166]
	v_fma_f64 v[92:93], v[120:121], v[92:93], -v[173:174]
	s_wait_loadcnt_dscnt 0x201
	v_mul_f64_e32 v[173:174], v[189:190], v[98:99]
	v_mul_f64_e32 v[120:121], v[187:188], v[82:83]
	;; [unrolled: 1-line block ×4, first 2 shown]
	s_wait_loadcnt 0x1
	v_mul_f64_e32 v[225:226], v[191:192], v[106:107]
	s_wait_loadcnt_dscnt 0x0
	v_mul_f64_e32 v[227:228], v[201:202], v[110:111]
	v_fma_f64 v[193:194], v[40:41], v[84:85], v[193:194]
	v_fma_f64 v[195:196], v[42:43], v[84:85], v[195:196]
	v_fma_f64 v[122:123], v[122:123], v[84:85], -v[197:198]
	v_fma_f64 v[84:85], v[124:125], v[84:85], -v[199:200]
	v_mul_f64_e32 v[82:83], v[22:23], v[82:83]
	v_mul_f64_e32 v[58:59], v[30:31], v[58:59]
	;; [unrolled: 1-line block ×4, first 2 shown]
	v_fma_f64 v[124:125], v[36:37], v[88:89], v[203:204]
	v_fma_f64 v[87:88], v[140:141], v[88:89], -v[90:91]
	v_mul_f64_e32 v[89:90], v[18:19], v[106:107]
	v_fma_f64 v[2:3], v[2:3], v[72:73], v[207:208]
	v_fma_f64 v[14:15], v[14:15], v[76:77], v[209:210]
	;; [unrolled: 1-line block ×3, first 2 shown]
	v_mul_f64_e32 v[106:107], v[112:113], v[110:111]
	v_fma_f64 v[140:141], v[150:151], v[72:73], -v[213:214]
	v_fma_f64 v[146:147], v[146:147], v[76:77], -v[215:216]
	;; [unrolled: 1-line block ×3, first 2 shown]
	v_fma_f64 v[24:25], v[24:25], v[72:73], v[221:222]
	v_fma_f64 v[110:111], v[38:39], v[48:49], v[205:206]
	;; [unrolled: 1-line block ×3, first 2 shown]
	v_fma_f64 v[72:73], v[180:181], v[72:73], -v[74:75]
	v_fma_f64 v[64:65], v[158:159], v[64:65], -v[66:67]
	v_fma_f64 v[34:35], v[34:35], v[52:53], v[217:218]
	v_fma_f64 v[20:21], v[20:21], v[60:61], v[223:224]
	v_fma_f64 v[48:49], v[142:143], v[48:49], -v[50:51]
	v_fma_f64 v[50:51], v[160:161], v[52:53], -v[54:55]
	;; [unrolled: 1-line block ×3, first 2 shown]
	v_fma_f64 v[30:31], v[30:31], v[56:57], v[126:127]
	v_fma_f64 v[26:27], v[26:27], v[68:69], v[162:163]
	ds_load_2addr_b64 v[36:39], v154 offset1:125
	ds_load_2addr_b64 v[40:43], v156 offset0:122 offset1:247
	v_fma_f64 v[16:17], v[16:17], v[96:97], v[173:174]
	v_fma_f64 v[22:23], v[22:23], v[80:81], v[120:121]
	;; [unrolled: 1-line block ×3, first 2 shown]
	v_fma_f64 v[66:67], v[182:183], v[68:69], -v[70:71]
	v_fma_f64 v[18:19], v[18:19], v[104:105], v[225:226]
	v_fma_f64 v[68:69], v[112:113], v[108:109], v[227:228]
	global_wb scope:SCOPE_SE
	s_wait_dscnt 0x0
	s_barrier_signal -1
	s_barrier_wait -1
	global_inv scope:SCOPE_SE
	v_fma_f64 v[54:55], v[187:188], v[80:81], -v[82:83]
	v_fma_f64 v[56:57], v[171:172], v[56:57], -v[58:59]
	;; [unrolled: 1-line block ×5, first 2 shown]
	v_add_f64_e32 v[102:103], v[2:3], v[193:194]
	v_add_f64_e32 v[82:83], v[44:45], v[14:15]
	;; [unrolled: 1-line block ×3, first 2 shown]
	v_fma_f64 v[70:71], v[201:202], v[108:109], -v[106:107]
	v_add_f64_e32 v[199:200], v[140:141], v[122:123]
	v_add_f64_e32 v[197:198], v[118:119], v[146:147]
	;; [unrolled: 1-line block ×3, first 2 shown]
	v_add_f64_e64 v[98:99], v[44:45], -v[2:3]
	v_add_f64_e64 v[100:101], v[14:15], -v[193:194]
	v_add_f64_e32 v[106:107], v[24:25], v[195:196]
	v_add_f64_e64 v[74:75], v[2:3], -v[44:45]
	v_add_f64_e64 v[78:79], v[193:194], -v[14:15]
	v_add_f64_e32 v[80:81], v[8:9], v[2:3]
	v_add_f64_e32 v[173:174], v[20:21], v[34:35]
	;; [unrolled: 1-line block ×4, first 2 shown]
	v_add_f64_e64 v[112:113], v[24:25], -v[46:47]
	v_add_f64_e32 v[165:166], v[124:125], v[30:31]
	v_add_f64_e32 v[169:170], v[26:27], v[32:33]
	v_add_f64_e64 v[120:121], v[195:196], -v[28:29]
	v_add_f64_e64 v[126:127], v[46:47], -v[24:25]
	v_add_f64_e32 v[171:172], v[110:111], v[16:17]
	v_add_f64_e64 v[142:143], v[28:29], -v[195:196]
	v_add_f64_e64 v[182:183], v[124:125], -v[26:27]
	;; [unrolled: 1-line block ×3, first 2 shown]
	v_add_f64_e32 v[185:186], v[12:13], v[18:19]
	v_add_f64_e32 v[187:188], v[22:23], v[68:69]
	v_add_f64_e64 v[209:210], v[110:111], -v[20:21]
	v_add_f64_e64 v[211:212], v[16:17], -v[34:35]
	v_add_f64_e32 v[162:163], v[4:5], v[26:27]
	v_add_f64_e32 v[231:232], v[38:39], v[72:73]
	;; [unrolled: 1-line block ×3, first 2 shown]
	v_add_f64_e64 v[205:206], v[20:21], -v[110:111]
	v_add_f64_e64 v[207:208], v[34:35], -v[16:17]
	v_add_f64_e64 v[233:234], v[72:73], -v[92:93]
	v_add_f64_e64 v[235:236], v[84:85], -v[76:77]
	v_add_f64_e64 v[215:216], v[22:23], -v[12:13]
	v_add_f64_e64 v[217:218], v[68:69], -v[18:19]
	v_add_f64_e64 v[219:220], v[12:13], -v[22:23]
	v_add_f64_e64 v[221:222], v[18:19], -v[68:69]
	v_add_f64_e64 v[223:224], v[140:141], -v[118:119]
	v_add_f64_e64 v[225:226], v[122:123], -v[146:147]
	v_add_f64_e64 v[144:145], v[72:73], -v[84:85]
	v_add_f64_e32 v[213:214], v[0:1], v[22:23]
	v_add_f64_e64 v[72:73], v[92:93], -v[72:73]
	v_fma_f64 v[82:83], v[82:83], -0.5, v[8:9]
	v_fma_f64 v[8:9], v[102:103], -0.5, v[8:9]
	;; [unrolled: 1-line block ×3, first 2 shown]
	v_add_f64_e64 v[104:105], v[76:77], -v[84:85]
	v_add_f64_e32 v[227:228], v[36:37], v[140:141]
	v_fma_f64 v[197:198], v[197:198], -0.5, v[36:37]
	v_fma_f64 v[36:37], v[199:200], -0.5, v[36:37]
	;; [unrolled: 1-line block ×3, first 2 shown]
	v_add_f64_e32 v[201:202], v[42:43], v[52:53]
	v_fma_f64 v[10:11], v[106:107], -0.5, v[10:11]
	v_add_f64_e32 v[106:107], v[87:88], v[56:57]
	v_add_f64_e32 v[98:99], v[98:99], v[100:101]
	;; [unrolled: 1-line block ×3, first 2 shown]
	v_fma_f64 v[165:166], v[165:166], -0.5, v[4:5]
	v_fma_f64 v[4:5], v[169:170], -0.5, v[4:5]
	;; [unrolled: 1-line block ×3, first 2 shown]
	v_add_f64_e32 v[171:172], v[66:67], v[64:65]
	v_add_f64_e32 v[237:238], v[40:41], v[66:67]
	v_add_f64_e64 v[89:90], v[140:141], -v[122:123]
	v_add_f64_e64 v[158:159], v[26:27], -v[124:125]
	v_add_f64_e64 v[160:161], v[32:33], -v[30:31]
	v_add_f64_e64 v[140:141], v[118:119], -v[140:141]
	v_add_f64_e64 v[229:230], v[146:147], -v[122:123]
	v_fma_f64 v[6:7], v[173:174], -0.5, v[6:7]
	v_add_f64_e32 v[173:174], v[48:49], v[60:61]
	v_fma_f64 v[185:186], v[185:186], -0.5, v[0:1]
	v_fma_f64 v[0:1], v[187:188], -0.5, v[0:1]
	v_add_f64_e32 v[187:188], v[52:53], v[50:51]
	v_fma_f64 v[38:39], v[203:204], -0.5, v[38:39]
	v_add_f64_e32 v[203:204], v[58:59], v[62:63]
	v_add_f64_e32 v[74:75], v[74:75], v[78:79]
	;; [unrolled: 1-line block ×4, first 2 shown]
	v_add_f64_e64 v[96:97], v[118:119], -v[146:147]
	v_add_f64_e64 v[150:151], v[92:93], -v[76:77]
	v_add_f64_e32 v[112:113], v[112:113], v[120:121]
	v_add_f64_e64 v[120:121], v[66:67], -v[87:88]
	v_add_f64_e32 v[126:127], v[126:127], v[142:143]
	v_add_f64_e64 v[142:143], v[64:65], -v[56:57]
	v_add_f64_e32 v[182:183], v[182:183], v[189:190]
	v_add_f64_e64 v[189:190], v[52:53], -v[48:49]
	v_add_f64_e32 v[209:210], v[209:210], v[211:212]
	v_add_f64_e64 v[211:212], v[50:51], -v[60:61]
	v_add_f64_e32 v[108:109], v[108:109], v[46:47]
	v_add_f64_e64 v[180:181], v[66:67], -v[64:65]
	v_add_f64_e32 v[162:163], v[162:163], v[124:125]
	v_add_f64_e32 v[91:92], v[231:232], v[92:93]
	v_add_f64_e64 v[231:232], v[87:88], -v[56:57]
	v_add_f64_e32 v[205:206], v[205:206], v[207:208]
	v_add_f64_e64 v[207:208], v[48:49], -v[52:53]
	v_add_f64_e64 v[52:53], v[52:53], -v[50:51]
	v_add_f64_e32 v[191:192], v[191:192], v[110:111]
	v_add_f64_e32 v[233:234], v[233:234], v[235:236]
	v_add_f64_e64 v[235:236], v[48:49], -v[60:61]
	v_add_f64_e32 v[215:216], v[215:216], v[217:218]
	v_add_f64_e64 v[217:218], v[60:61], -v[50:51]
	;; [unrolled: 2-line block ×4, first 2 shown]
	v_add_f64_e64 v[54:55], v[54:55], -v[70:71]
	v_add_f64_e32 v[72:73], v[72:73], v[104:105]
	v_add_f64_e64 v[104:105], v[58:59], -v[62:63]
	v_add_f64_e32 v[213:214], v[213:214], v[12:13]
	v_add_f64_e32 v[118:119], v[227:228], v[118:119]
	v_add_f64_e64 v[2:3], v[2:3], -v[193:194]
	v_add_f64_e64 v[44:45], v[44:45], -v[14:15]
	;; [unrolled: 1-line block ×4, first 2 shown]
	v_add_f64_e32 v[48:49], v[201:202], v[48:49]
	v_add_f64_e64 v[26:27], v[26:27], -v[32:33]
	v_fma_f64 v[106:107], v[106:107], -0.5, v[40:41]
	v_add_f64_e32 v[58:59], v[100:101], v[58:59]
	v_add_f64_e64 v[66:67], v[87:88], -v[66:67]
	v_add_f64_e64 v[124:125], v[124:125], -v[30:31]
	v_fma_f64 v[40:41], v[171:172], -0.5, v[40:41]
	v_add_f64_e32 v[87:88], v[237:238], v[87:88]
	v_add_f64_e32 v[158:159], v[158:159], v[160:161]
	v_add_f64_e64 v[160:161], v[56:57], -v[64:65]
	v_add_f64_e64 v[227:228], v[70:71], -v[62:63]
	v_add_f64_e32 v[140:141], v[140:141], v[229:230]
	v_add_f64_e64 v[229:230], v[62:63], -v[70:71]
	v_add_f64_e64 v[20:21], v[20:21], -v[34:35]
	;; [unrolled: 1-line block ×5, first 2 shown]
	v_fma_f64 v[171:172], v[173:174], -0.5, v[42:43]
	v_fma_f64 v[42:43], v[187:188], -0.5, v[42:43]
	;; [unrolled: 1-line block ×4, first 2 shown]
	v_add_f64_e32 v[14:15], v[80:81], v[14:15]
	v_fma_f64 v[80:81], v[89:90], s[12:13], v[82:83]
	v_fma_f64 v[187:188], v[96:97], s[14:15], v[8:9]
	;; [unrolled: 1-line block ×4, first 2 shown]
	v_add_f64_e32 v[120:121], v[120:121], v[142:143]
	v_add_f64_e32 v[142:143], v[189:190], v[211:212]
	;; [unrolled: 1-line block ×3, first 2 shown]
	v_fma_f64 v[108:109], v[144:145], s[12:13], v[102:103]
	v_fma_f64 v[189:190], v[150:151], s[14:15], v[10:11]
	;; [unrolled: 1-line block ×4, first 2 shown]
	v_add_f64_e32 v[30:31], v[162:163], v[30:31]
	v_fma_f64 v[162:163], v[180:181], s[12:13], v[165:166]
	v_fma_f64 v[201:202], v[231:232], s[14:15], v[4:5]
	;; [unrolled: 1-line block ×3, first 2 shown]
	v_add_f64_e32 v[16:17], v[191:192], v[16:17]
	v_fma_f64 v[191:192], v[52:53], s[12:13], v[169:170]
	v_fma_f64 v[203:204], v[235:236], s[14:15], v[6:7]
	;; [unrolled: 1-line block ×3, first 2 shown]
	v_add_f64_e32 v[148:149], v[207:208], v[217:218]
	v_fma_f64 v[207:208], v[54:55], s[12:13], v[185:186]
	v_add_f64_e32 v[18:19], v[213:214], v[18:19]
	v_fma_f64 v[211:212], v[104:105], s[14:15], v[0:1]
	v_fma_f64 v[0:1], v[104:105], s[12:13], v[0:1]
	;; [unrolled: 1-line block ×5, first 2 shown]
	v_add_f64_e32 v[118:119], v[118:119], v[146:147]
	v_fma_f64 v[146:147], v[2:3], s[14:15], v[197:198]
	v_fma_f64 v[213:214], v[44:45], s[12:13], v[36:37]
	;; [unrolled: 1-line block ×4, first 2 shown]
	v_add_f64_e32 v[76:77], v[91:92], v[76:77]
	v_fma_f64 v[91:92], v[24:25], s[14:15], v[199:200]
	v_fma_f64 v[217:218], v[46:47], s[12:13], v[38:39]
	v_add_f64_e32 v[48:49], v[48:49], v[60:61]
	v_fma_f64 v[60:61], v[24:25], s[12:13], v[199:200]
	v_fma_f64 v[38:39], v[46:47], s[14:15], v[38:39]
	v_add_f64_e32 v[58:59], v[58:59], v[62:63]
	v_fma_f64 v[62:63], v[26:27], s[14:15], v[106:107]
	v_add_f64_e32 v[56:57], v[87:88], v[56:57]
	v_fma_f64 v[87:88], v[26:27], s[12:13], v[106:107]
	v_fma_f64 v[106:107], v[124:125], s[12:13], v[40:41]
	;; [unrolled: 1-line block ×3, first 2 shown]
	v_add_f64_e32 v[66:67], v[66:67], v[160:161]
	v_add_f64_e32 v[100:101], v[221:222], v[227:228]
	v_add_f64_e32 v[160:161], v[225:226], v[229:230]
	v_fma_f64 v[199:200], v[20:21], s[14:15], v[171:172]
	v_fma_f64 v[171:172], v[20:21], s[12:13], v[171:172]
	;; [unrolled: 1-line block ×17, first 2 shown]
	v_add_f64_e32 v[30:31], v[30:31], v[32:33]
	v_fma_f64 v[32:33], v[180:181], s[4:5], v[201:202]
	v_fma_f64 v[4:5], v[180:181], s[10:11], v[4:5]
	v_fma_f64 v[144:145], v[235:236], s[4:5], v[191:192]
	v_add_f64_e32 v[16:17], v[16:17], v[34:35]
	v_fma_f64 v[34:35], v[52:53], s[4:5], v[203:204]
	v_fma_f64 v[6:7], v[52:53], s[10:11], v[6:7]
	v_fma_f64 v[52:53], v[104:105], s[4:5], v[207:208]
	;; [unrolled: 4-line block ×3, first 2 shown]
	v_fma_f64 v[150:151], v[235:236], s[10:11], v[169:170]
	v_fma_f64 v[104:105], v[104:105], s[10:11], v[185:186]
	;; [unrolled: 1-line block ×3, first 2 shown]
	v_add_f64_e32 v[118:119], v[118:119], v[122:123]
	v_fma_f64 v[122:123], v[2:3], s[10:11], v[213:214]
	v_fma_f64 v[2:3], v[2:3], s[4:5], v[36:37]
	;; [unrolled: 1-line block ×10, first 2 shown]
	v_add_f64_e32 v[14:15], v[14:15], v[193:194]
	v_fma_f64 v[60:61], v[124:125], s[4:5], v[87:88]
	v_fma_f64 v[40:41], v[110:111], s[10:11], v[199:200]
	;; [unrolled: 1-line block ×12, first 2 shown]
	v_add_f64_e32 v[28:29], v[28:29], v[195:196]
	v_fma_f64 v[74:75], v[74:75], s[2:3], v[82:83]
	v_fma_f64 v[82:83], v[112:113], s[2:3], v[89:90]
	;; [unrolled: 1-line block ×17, first 2 shown]
	v_add_f64_e32 v[48:49], v[48:49], v[50:51]
	v_add_f64_e32 v[50:51], v[58:59], v[70:71]
	v_fma_f64 v[58:59], v[223:224], s[2:3], v[146:147]
	v_add_f64_e32 v[56:57], v[56:57], v[64:65]
	v_fma_f64 v[64:65], v[140:141], s[2:3], v[122:123]
	v_fma_f64 v[70:71], v[140:141], s[2:3], v[2:3]
	v_add_f64_e32 v[76:77], v[76:77], v[84:85]
	v_fma_f64 v[84:85], v[223:224], s[2:3], v[36:37]
	v_fma_f64 v[112:113], v[233:234], s[2:3], v[44:45]
	;; [unrolled: 1-line block ×16, first 2 shown]
	ds_store_2addr_b64 v154, v[14:15], v[80:81] offset1:125
	ds_store_2addr_b64 v156, v[110:111], v[8:9] offset0:122 offset1:247
	ds_store_2addr_b64 v130, v[74:75], v[28:29] offset0:116 offset1:241
	;; [unrolled: 1-line block ×10, first 2 shown]
	ds_store_b64 v114, v[54:55] offset:14000
	ds_store_b64 v115, v[108:109] offset:19000
	;; [unrolled: 1-line block ×3, first 2 shown]
	global_wb scope:SCOPE_SE
	s_wait_dscnt 0x0
	s_barrier_signal -1
	s_barrier_wait -1
	global_inv scope:SCOPE_SE
	ds_load_b64 v[180:181], v154 offset:24000
	ds_load_2addr_b64 v[0:3], v154 offset1:125
	ds_load_2addr_b64 v[8:11], v130 offset0:116 offset1:241
	ds_load_2addr_b64 v[12:15], v157 offset0:98 offset1:223
	;; [unrolled: 1-line block ×11, first 2 shown]
	v_fma_f64 v[106:107], v[148:149], s[2:3], v[106:107]
	global_wb scope:SCOPE_SE
	s_wait_dscnt 0x0
	s_barrier_signal -1
	s_barrier_wait -1
	global_inv scope:SCOPE_SE
	ds_store_2addr_b64 v154, v[118:119], v[58:59] offset1:125
	ds_store_2addr_b64 v156, v[64:65], v[70:71] offset0:122 offset1:247
	ds_store_2addr_b64 v130, v[84:85], v[76:77] offset0:116 offset1:241
	ds_store_2addr_b64 v164, v[112:113], v[91:92] offset0:110 offset1:235
	ds_store_2addr_b64 v133, v[72:73], v[122:123] offset0:104 offset1:229
	ds_store_2addr_b64 v94, v[56:57], v[124:125] offset0:98 offset1:223
	ds_store_2addr_b64 v95, v[62:63], v[66:67] offset0:92 offset1:217
	ds_store_2addr_b64 v117, v[48:49], v[120:121] offset0:83 offset1:208
	ds_store_2addr_b64 v86, v[106:107], v[126:127] offset0:77 offset1:202
	ds_store_2addr_b64 v167, v[50:51], v[78:79] offset0:68 offset1:193
	ds_store_2addr_b64 v175, v[140:141], v[142:143] offset0:62 offset1:187
	ds_store_b64 v114, v[60:61] offset:14000
	ds_store_b64 v115, v[87:88] offset:19000
	;; [unrolled: 1-line block ×3, first 2 shown]
	global_wb scope:SCOPE_SE
	s_wait_dscnt 0x0
	s_barrier_signal -1
	s_barrier_wait -1
	global_inv scope:SCOPE_SE
	s_and_saveexec_b32 s0, vcc_lo
	s_cbranch_execz .LBB0_15
; %bb.14:
	v_lshlrev_b32_e32 v178, 2, v139
	v_lshlrev_b64_e32 v[193:194], 4, v[176:177]
	v_mov_b32_e32 v177, v179
	global_load_b128 v[124:127], v[128:129], off offset:9952
	v_dual_mov_b32 v200, v179 :: v_dual_add_nc_u32 v191, 0x7d, v184
	v_lshlrev_b64_e32 v[48:49], 4, v[178:179]
	v_dual_mov_b32 v185, v179 :: v_dual_lshlrev_b32 v178, 2, v138
	s_delay_alu instid0(VALU_DEP_3)
	v_mul_hi_u32 v199, 0xd1b71759, v191
	v_mul_lo_u32 v189, s16, v153
	v_mad_co_u64_u32 v[186:187], null, s16, v152, 0
	v_add_co_u32 v56, vcc_lo, s8, v48
	s_wait_alu 0xfffd
	v_add_co_ci_u32_e32 v57, vcc_lo, s9, v49, vcc_lo
	v_lshlrev_b64_e32 v[48:49], 4, v[178:179]
	v_dual_mov_b32 v203, v179 :: v_dual_lshlrev_b32 v178, 2, v137
	s_clause 0x1
	global_load_b128 v[108:111], v[56:57], off offset:9936
	global_load_b128 v[100:103], v[56:57], off offset:9952
	v_mul_hi_u32 v201, 0xd1b71759, v184
	v_add_co_u32 v58, vcc_lo, s8, v48
	s_wait_alu 0xfffd
	v_add_co_ci_u32_e32 v59, vcc_lo, s9, v49, vcc_lo
	s_clause 0x5
	global_load_b128 v[64:67], v[58:59], off offset:9952
	global_load_b128 v[52:55], v[56:57], off offset:9920
	;; [unrolled: 1-line block ×6, first 2 shown]
	v_lshlrev_b64_e32 v[56:57], 4, v[178:179]
	v_lshlrev_b32_e32 v178, 2, v136
	s_clause 0x1
	global_load_b128 v[104:107], v[128:129], off offset:9936
	global_load_b128 v[68:71], v[58:59], off offset:9936
	v_dual_mov_b32 v198, v179 :: v_dual_add_nc_u32 v195, 0x177, v184
	v_lshlrev_b64_e32 v[60:61], 4, v[178:179]
	v_add_co_u32 v56, vcc_lo, s8, v56
	s_wait_alu 0xfffd
	v_add_co_ci_u32_e32 v57, vcc_lo, s9, v57, vcc_lo
	s_clause 0x2
	global_load_b128 v[80:83], v[58:59], off offset:9968
	global_load_b128 v[88:91], v[56:57], off offset:9936
	;; [unrolled: 1-line block ×3, first 2 shown]
	v_add_co_u32 v72, vcc_lo, s8, v60
	s_wait_alu 0xfffd
	v_add_co_ci_u32_e32 v73, vcc_lo, s9, v61, vcc_lo
	s_clause 0x5
	global_load_b128 v[92:95], v[56:57], off offset:9952
	global_load_b128 v[96:99], v[56:57], off offset:9920
	;; [unrolled: 1-line block ×6, first 2 shown]
	ds_load_2addr_b64 v[140:143], v135 offset0:86 offset1:211
	ds_load_2addr_b64 v[148:151], v134 offset0:74 offset1:199
	;; [unrolled: 1-line block ×6, first 2 shown]
	v_mul_lo_u32 v178, s17, v152
	v_dual_mov_b32 v196, v179 :: v_dual_add_nc_u32 v197, 0x1f4, v184
	v_add_nc_u32_e32 v176, 0xfa, v184
	v_lshrrev_b32_e32 v199, 9, v199
	v_mul_hi_u32 v205, 0xd1b71759, v195
	ds_load_2addr_b64 v[160:163], v157 offset0:98 offset1:223
	v_mul_hi_u32 v206, 0xd1b71759, v197
	v_mul_hi_u32 v202, 0xd1b71759, v176
	v_add3_u32 v187, v187, v189, v178
	v_lshrrev_b32_e32 v178, 9, v201
	v_mul_u32_u24_e32 v201, 0x271, v199
	ds_load_b64 v[182:183], v154 offset:24000
	ds_load_2addr_b64 v[156:159], v156 offset0:122 offset1:247
	ds_load_2addr_b64 v[164:167], v164 offset0:110 offset1:235
	;; [unrolled: 1-line block ×4, first 2 shown]
	ds_load_2addr_b64 v[152:155], v154 offset1:125
	v_lshlrev_b64_e32 v[186:187], 4, v[186:187]
	v_mul_u32_u24_e32 v178, 0x271, v178
	v_sub_nc_u32_e32 v191, v191, v201
	v_lshrrev_b32_e32 v189, 9, v202
	v_lshrrev_b32_e32 v202, 9, v205
	;; [unrolled: 1-line block ×3, first 2 shown]
	v_sub_nc_u32_e32 v235, v184, v178
	v_mad_u32_u24 v178, 0xc35, v199, v191
	v_add_co_u32 v184, vcc_lo, s6, v186
	v_mul_u32_u24_e32 v205, 0x271, v202
	v_mul_u32_u24_e32 v206, 0x271, v223
	s_delay_alu instid0(VALU_DEP_4)
	v_dual_mov_b32 v190, v179 :: v_dual_add_nc_u32 v199, 0x271, v178
	v_mul_u32_u24_e32 v201, 0x271, v189
	s_wait_alu 0xfffd
	v_add_co_ci_u32_e32 v187, vcc_lo, s7, v187, vcc_lo
	v_sub_nc_u32_e32 v215, v195, v205
	v_sub_nc_u32_e32 v224, v197, v206
	v_lshlrev_b64_e32 v[205:206], 4, v[178:179]
	v_dual_mov_b32 v188, v179 :: v_dual_add_nc_u32 v197, 0x4e2, v178
	v_add_co_u32 v186, vcc_lo, v184, v193
	v_dual_mov_b32 v192, v179 :: v_dual_add_nc_u32 v195, 0x753, v178
	v_sub_nc_u32_e32 v176, v176, v201
	v_add_nc_u32_e32 v178, 0x9c4, v178
	s_wait_alu 0xfffd
	v_add_co_ci_u32_e32 v201, vcc_lo, v187, v194, vcc_lo
	v_lshlrev_b64_e32 v[199:200], 4, v[199:200]
	v_lshlrev_b64_e32 v[197:198], 4, v[197:198]
	v_add_co_u32 v193, vcc_lo, v186, v205
	v_lshlrev_b64_e32 v[207:208], 4, v[178:179]
	v_mad_u32_u24 v178, 0xc35, v189, v176
	s_wait_alu 0xfffd
	v_add_co_ci_u32_e32 v194, vcc_lo, v201, v206, vcc_lo
	v_lshlrev_b64_e32 v[195:196], 4, v[195:196]
	v_add_co_u32 v199, vcc_lo, v186, v199
	s_wait_alu 0xfffd
	v_add_co_ci_u32_e32 v200, vcc_lo, v201, v200, vcc_lo
	v_add_co_u32 v197, vcc_lo, v186, v197
	v_dual_mov_b32 v204, v179 :: v_dual_add_nc_u32 v189, 0x271, v178
	s_wait_alu 0xfffd
	v_add_co_ci_u32_e32 v198, vcc_lo, v201, v198, vcc_lo
	v_lshlrev_b64_e32 v[205:206], 4, v[178:179]
	v_add_co_u32 v195, vcc_lo, v186, v195
	v_add_nc_u32_e32 v187, 0x4e2, v178
	s_wait_alu 0xfffd
	v_add_co_ci_u32_e32 v196, vcc_lo, v201, v196, vcc_lo
	v_add_nc_u32_e32 v191, 0x753, v178
	v_add_nc_u32_e32 v178, 0x9c4, v178
	v_add_co_u32 v207, vcc_lo, v186, v207
	v_lshlrev_b64_e32 v[189:190], 4, v[189:190]
	s_wait_alu 0xfffd
	v_add_co_ci_u32_e32 v208, vcc_lo, v201, v208, vcc_lo
	v_lshlrev_b64_e32 v[187:188], 4, v[187:188]
	v_add_co_u32 v205, vcc_lo, v186, v205
	v_lshlrev_b64_e32 v[213:214], 4, v[178:179]
	v_mad_u32_u24 v178, 0xc35, v202, v215
	s_wait_alu 0xfffd
	v_add_co_ci_u32_e32 v206, vcc_lo, v201, v206, vcc_lo
	v_lshlrev_b64_e32 v[191:192], 4, v[191:192]
	v_add_co_u32 v189, vcc_lo, v186, v189
	s_wait_alu 0xfffd
	v_add_co_ci_u32_e32 v190, vcc_lo, v201, v190, vcc_lo
	v_add_co_u32 v187, vcc_lo, v186, v187
	v_add_nc_u32_e32 v176, 0x271, v178
	s_wait_alu 0xfffd
	v_add_co_ci_u32_e32 v188, vcc_lo, v201, v188, vcc_lo
	v_lshlrev_b64_e32 v[215:216], 4, v[178:179]
	v_add_co_u32 v191, vcc_lo, v186, v191
	s_wait_alu 0xfffd
	v_add_co_ci_u32_e32 v192, vcc_lo, v201, v192, vcc_lo
	v_lshlrev_b64_e32 v[176:177], 4, v[176:177]
	v_add_nc_u32_e32 v184, 0x4e2, v178
	v_add_nc_u32_e32 v202, 0x753, v178
	;; [unrolled: 1-line block ×3, first 2 shown]
	s_delay_alu instid0(VALU_DEP_3) | instskip(NEXT) | instid1(VALU_DEP_3)
	v_lshlrev_b64_e32 v[184:185], 4, v[184:185]
	v_lshlrev_b64_e32 v[202:203], 4, v[202:203]
	s_wait_loadcnt 0x13
	v_mul_f64_e32 v[209:210], v[46:47], v[126:127]
	s_wait_dscnt 0xc
	v_mul_f64_e32 v[126:127], v[142:143], v[126:127]
	s_wait_loadcnt 0x12
	v_mul_f64_e32 v[211:212], v[44:45], v[110:111]
	v_mul_f64_e32 v[110:111], v[140:141], v[110:111]
	s_wait_loadcnt 0x11
	v_mul_f64_e32 v[217:218], v[42:43], v[102:103]
	s_wait_dscnt 0xb
	v_mul_f64_e32 v[102:103], v[150:151], v[102:103]
	s_wait_loadcnt 0x10
	v_mul_f64_e32 v[219:220], v[40:41], v[66:67]
	v_mul_f64_e32 v[66:67], v[148:149], v[66:67]
	s_wait_loadcnt 0xf
	v_mul_f64_e32 v[221:222], v[38:39], v[54:55]
	s_wait_dscnt 0xa
	v_mul_f64_e32 v[54:55], v[146:147], v[54:55]
	v_fma_f64 v[142:143], v[124:125], v[142:143], -v[209:210]
	v_fma_f64 v[46:47], v[46:47], v[124:125], v[126:127]
	s_wait_loadcnt 0xe
	v_mul_f64_e32 v[126:127], v[36:37], v[50:51]
	v_mul_f64_e32 v[50:51], v[144:145], v[50:51]
	v_add_co_u32 v124, vcc_lo, v186, v213
	s_wait_alu 0xfffd
	v_add_co_ci_u32_e32 v125, vcc_lo, v201, v214, vcc_lo
	s_wait_loadcnt 0x9
	v_mul_f64_e32 v[213:214], v[30:31], v[70:71]
	v_lshlrev_b64_e32 v[209:210], 4, v[178:179]
	v_mad_u32_u24 v178, 0xc35, v223, v224
	v_fma_f64 v[140:141], v[108:109], v[140:141], -v[211:212]
	v_mul_f64_e32 v[211:212], v[180:181], v[122:123]
	v_fma_f64 v[44:45], v[44:45], v[108:109], v[110:111]
	s_wait_dscnt 0x5
	v_mul_f64_e32 v[108:109], v[182:183], v[122:123]
	v_fma_f64 v[42:43], v[42:43], v[100:101], v[102:103]
	v_add_co_u32 v102, vcc_lo, v186, v215
	s_wait_alu 0xfffd
	v_add_co_ci_u32_e32 v103, vcc_lo, v201, v216, vcc_lo
	v_mul_f64_e32 v[122:123], v[16:17], v[114:115]
	v_fma_f64 v[150:151], v[100:101], v[150:151], -v[217:218]
	s_wait_dscnt 0x1
	v_mul_f64_e32 v[100:101], v[172:173], v[114:115]
	v_add_co_u32 v114, vcc_lo, v186, v176
	v_mul_f64_e32 v[110:111], v[10:11], v[118:119]
	v_mul_f64_e32 v[118:119], v[130:131], v[118:119]
	s_wait_alu 0xfffd
	v_add_co_ci_u32_e32 v115, vcc_lo, v201, v177, vcc_lo
	v_mul_f64_e32 v[176:177], v[12:13], v[106:107]
	v_fma_f64 v[148:149], v[64:65], v[148:149], -v[219:220]
	v_fma_f64 v[40:41], v[40:41], v[64:65], v[66:67]
	v_mul_f64_e32 v[64:65], v[134:135], v[70:71]
	s_wait_loadcnt 0x8
	v_mul_f64_e32 v[66:67], v[34:35], v[82:83]
	v_mul_f64_e32 v[70:71], v[138:139], v[82:83]
	s_wait_loadcnt 0x7
	v_mul_f64_e32 v[82:83], v[28:29], v[90:91]
	v_fma_f64 v[146:147], v[52:53], v[146:147], -v[221:222]
	v_fma_f64 v[38:39], v[38:39], v[52:53], v[54:55]
	v_mul_f64_e32 v[52:53], v[132:133], v[90:91]
	s_wait_loadcnt 0x6
	v_mul_f64_e32 v[54:55], v[32:33], v[86:87]
	v_fma_f64 v[90:91], v[48:49], v[144:145], -v[126:127]
	s_wait_loadcnt 0x5
	v_mul_f64_e32 v[126:127], v[22:23], v[94:95]
	s_wait_loadcnt 0x4
	v_mul_f64_e32 v[144:145], v[26:27], v[98:99]
	v_fma_f64 v[36:37], v[36:37], v[48:49], v[50:51]
	v_mul_f64_e32 v[48:49], v[136:137], v[86:87]
	v_mul_f64_e32 v[50:51], v[170:171], v[94:95]
	v_mul_f64_e32 v[86:87], v[166:167], v[98:99]
	s_wait_loadcnt 0x3
	v_mul_f64_e32 v[94:95], v[14:15], v[62:63]
	v_mul_f64_e32 v[106:107], v[160:161], v[106:107]
	v_mul_f64_e32 v[62:63], v[162:163], v[62:63]
	v_fma_f64 v[98:99], v[120:121], v[182:183], -v[211:212]
	s_wait_loadcnt 0x0
	v_mul_f64_e32 v[182:183], v[18:19], v[74:75]
	v_fma_f64 v[108:109], v[180:181], v[120:121], v[108:109]
	v_mul_f64_e32 v[120:121], v[20:21], v[58:59]
	v_mul_f64_e32 v[180:181], v[24:25], v[78:79]
	;; [unrolled: 1-line block ×5, first 2 shown]
	v_fma_f64 v[16:17], v[16:17], v[112:113], v[100:101]
	v_add_co_u32 v100, vcc_lo, v186, v184
	v_fma_f64 v[110:111], v[116:117], v[130:131], -v[110:111]
	v_fma_f64 v[10:11], v[10:11], v[116:117], v[118:119]
	v_fma_f64 v[116:117], v[112:113], v[172:173], -v[122:123]
	v_fma_f64 v[122:123], v[68:69], v[134:135], -v[213:214]
	;; [unrolled: 1-line block ×3, first 2 shown]
	s_wait_alu 0xfffd
	v_add_co_ci_u32_e32 v101, vcc_lo, v201, v185, vcc_lo
	v_fma_f64 v[30:31], v[30:31], v[68:69], v[64:65]
	v_fma_f64 v[66:67], v[80:81], v[138:139], -v[66:67]
	v_fma_f64 v[34:35], v[34:35], v[80:81], v[70:71]
	v_fma_f64 v[82:83], v[88:89], v[132:133], -v[82:83]
	v_lshlrev_b64_e32 v[112:113], 4, v[178:179]
	v_add_f64_e64 v[184:185], v[44:45], -v[38:39]
	v_fma_f64 v[28:29], v[28:29], v[88:89], v[52:53]
	v_fma_f64 v[54:55], v[84:85], v[136:137], -v[54:55]
	v_add_f64_e32 v[88:89], v[44:45], v[42:43]
	v_fma_f64 v[126:127], v[92:93], v[170:171], -v[126:127]
	v_fma_f64 v[130:131], v[96:97], v[166:167], -v[144:145]
	v_add_f64_e64 v[170:171], v[140:141], -v[146:147]
	v_fma_f64 v[32:33], v[32:33], v[84:85], v[48:49]
	v_fma_f64 v[22:23], v[22:23], v[92:93], v[50:51]
	;; [unrolled: 1-line block ×3, first 2 shown]
	v_fma_f64 v[48:49], v[60:61], v[162:163], -v[94:95]
	v_fma_f64 v[12:13], v[12:13], v[104:105], v[106:107]
	v_fma_f64 v[14:15], v[14:15], v[60:61], v[62:63]
	v_add_co_u32 v104, vcc_lo, v186, v202
	v_fma_f64 v[64:65], v[72:73], v[174:175], -v[182:183]
	v_fma_f64 v[50:51], v[56:57], v[168:169], -v[120:121]
	;; [unrolled: 1-line block ×3, first 2 shown]
	v_fma_f64 v[20:21], v[20:21], v[56:57], v[58:59]
	v_fma_f64 v[24:25], v[24:25], v[76:77], v[78:79]
	;; [unrolled: 1-line block ×3, first 2 shown]
	v_add_f64_e32 v[76:77], v[146:147], v[98:99]
	v_add_f64_e32 v[78:79], v[140:141], v[150:151]
	;; [unrolled: 1-line block ×3, first 2 shown]
	s_wait_alu 0xfffd
	v_add_co_ci_u32_e32 v105, vcc_lo, v201, v203, vcc_lo
	s_wait_dscnt 0x0
	v_add_f64_e32 v[60:61], v[110:111], v[152:153]
	v_add_f64_e32 v[58:59], v[10:11], v[16:17]
	;; [unrolled: 1-line block ×6, first 2 shown]
	v_add_f64_e64 v[80:81], v[110:111], -v[118:119]
	v_add_f64_e32 v[160:161], v[30:31], v[40:41]
	v_add_f64_e32 v[96:97], v[90:91], v[66:67]
	;; [unrolled: 1-line block ×3, first 2 shown]
	v_add_f64_e64 v[92:93], v[116:117], -v[142:143]
	v_add_f64_e64 v[138:139], v[16:17], -v[46:47]
	;; [unrolled: 1-line block ×5, first 2 shown]
	v_add_co_u32 v106, vcc_lo, v186, v209
	v_add_f64_e32 v[132:133], v[130:131], v[54:55]
	v_add_f64_e32 v[134:135], v[82:83], v[126:127]
	s_wait_alu 0xfffd
	v_add_co_ci_u32_e32 v107, vcc_lo, v201, v210, vcc_lo
	v_add_f64_e32 v[162:163], v[26:27], v[32:33]
	v_add_f64_e32 v[164:165], v[28:29], v[22:23]
	;; [unrolled: 1-line block ×3, first 2 shown]
	v_add_f64_e64 v[94:95], v[10:11], -v[12:13]
	v_add_f64_e32 v[166:167], v[146:147], v[128:129]
	v_add_f64_e32 v[168:169], v[8:9], v[38:39]
	v_add_f64_e64 v[209:210], v[38:39], -v[44:45]
	v_add_f64_e32 v[176:177], v[48:49], v[50:51]
	v_add_f64_e32 v[174:175], v[52:53], v[64:65]
	;; [unrolled: 1-line block ×3, first 2 shown]
	v_add_f64_e64 v[213:214], v[42:43], -v[108:109]
	v_add_f64_e32 v[202:203], v[24:25], v[18:19]
	v_add_f64_e64 v[215:216], v[108:109], -v[42:43]
	v_add_f64_e32 v[217:218], v[90:91], v[158:159]
	v_add_f64_e32 v[219:220], v[6:7], v[36:37]
	v_add_f64_e64 v[221:222], v[122:123], -v[90:91]
	v_add_f64_e64 v[225:226], v[148:149], -v[66:67]
	v_fma_f64 v[76:77], v[76:77], -0.5, v[128:129]
	v_fma_f64 v[78:79], v[78:79], -0.5, v[128:129]
	v_add_f64_e64 v[128:129], v[30:31], -v[36:37]
	v_fma_f64 v[86:87], v[86:87], -0.5, v[8:9]
	v_fma_f64 v[8:9], v[88:89], -0.5, v[8:9]
	;; [unrolled: 3-line block ×3, first 2 shown]
	v_fma_f64 v[96:97], v[96:97], -0.5, v[158:159]
	v_add_f64_e32 v[158:159], v[4:5], v[26:27]
	v_fma_f64 v[144:145], v[144:145], -0.5, v[6:7]
	v_fma_f64 v[6:7], v[160:161], -0.5, v[6:7]
	;; [unrolled: 1-line block ×3, first 2 shown]
	v_add_f64_e64 v[233:234], v[54:55], -v[126:127]
	v_add_f64_e64 v[68:69], v[118:119], -v[110:111]
	;; [unrolled: 1-line block ×7, first 2 shown]
	v_fma_f64 v[58:59], v[58:59], -0.5, v[0:1]
	v_fma_f64 v[160:161], v[162:163], -0.5, v[4:5]
	;; [unrolled: 1-line block ×3, first 2 shown]
	v_add_f64_e64 v[162:163], v[82:83], -v[130:131]
	v_add_f64_e64 v[164:165], v[130:131], -v[82:83]
	v_fma_f64 v[0:1], v[136:137], -0.5, v[0:1]
	v_add_f64_e32 v[60:61], v[118:119], v[60:61]
	v_add_f64_e32 v[62:63], v[12:13], v[62:63]
	;; [unrolled: 1-line block ×3, first 2 shown]
	v_fma_f64 v[152:153], v[174:175], -0.5, v[154:155]
	v_fma_f64 v[174:175], v[176:177], -0.5, v[154:155]
	v_add_f64_e64 v[176:177], v[126:127], -v[54:55]
	v_fma_f64 v[136:137], v[202:203], -0.5, v[2:3]
	v_fma_f64 v[211:212], v[211:212], -0.5, v[2:3]
	v_add_f64_e32 v[2:3], v[2:3], v[24:25]
	v_add_f64_e32 v[154:155], v[52:53], v[154:155]
	v_add_f64_e64 v[92:93], v[28:29], -v[26:27]
	v_add_f64_e32 v[94:95], v[94:95], v[138:139]
	v_add_f64_e64 v[138:139], v[26:27], -v[28:29]
	;; [unrolled: 2-line block ×4, first 2 shown]
	v_fma_f64 v[132:133], v[132:133], -0.5, v[156:157]
	v_fma_f64 v[134:135], v[134:135], -0.5, v[156:157]
	v_add_f64_e32 v[156:157], v[130:131], v[156:157]
	v_add_f64_e64 v[229:230], v[36:37], -v[30:31]
	v_add_f64_e64 v[231:232], v[34:35], -v[40:41]
	v_add_f64_e32 v[184:185], v[184:185], v[213:214]
	v_add_f64_e64 v[213:214], v[14:15], -v[24:25]
	v_add_f64_e32 v[209:210], v[209:210], v[215:216]
	;; [unrolled: 2-line block ×4, first 2 shown]
	v_add_f64_e64 v[88:89], v[52:53], -v[48:49]
	v_add_f64_e64 v[118:119], v[118:119], -v[142:143]
	v_add_f64_e32 v[68:69], v[68:69], v[70:71]
	v_dual_mov_b32 v71, v179 :: v_dual_add_nc_u32 v70, 0x4e2, v178
	v_add_f64_e64 v[10:11], v[10:11], -v[16:17]
	v_add_f64_e32 v[72:73], v[72:73], v[74:75]
	v_add_f64_e32 v[164:165], v[164:165], v[233:234]
	v_add_f64_e64 v[233:234], v[18:19], -v[20:21]
	v_lshlrev_b64_e32 v[237:238], 4, v[70:71]
	v_add_f64_e64 v[70:71], v[110:111], -v[116:117]
	v_dual_mov_b32 v75, v179 :: v_dual_add_nc_u32 v74, 0x753, v178
	v_add_f64_e64 v[12:13], v[12:13], -v[46:47]
	v_add_f64_e32 v[162:163], v[162:163], v[176:177]
	v_add_f64_e64 v[176:177], v[64:65], -v[50:51]
	v_add_f64_e32 v[223:224], v[223:224], v[227:228]
	v_add_f64_e64 v[227:228], v[48:49], -v[52:53]
	v_add_f64_e64 v[24:25], v[24:25], -v[18:19]
	;; [unrolled: 1-line block ×3, first 2 shown]
	v_add_f64_e32 v[2:3], v[14:15], v[2:3]
	v_add_f64_e32 v[60:61], v[142:143], v[60:61]
	v_lshlrev_b64_e32 v[239:240], 4, v[74:75]
	v_add_f64_e32 v[74:75], v[44:45], v[168:169]
	v_add_f64_e64 v[44:45], v[44:45], -v[42:43]
	v_add_f64_e32 v[110:111], v[140:141], v[166:167]
	v_add_f64_e64 v[38:39], v[38:39], -v[108:109]
	v_add_f64_e32 v[166:167], v[122:123], v[217:218]
	v_add_f64_e32 v[92:93], v[92:93], v[172:173]
	v_add_f64_e64 v[172:173], v[14:15], -v[20:21]
	v_add_f64_e32 v[138:139], v[138:139], v[182:183]
	v_add_f64_e64 v[182:183], v[48:49], -v[50:51]
	v_add_f64_e32 v[14:15], v[48:49], v[154:155]
	v_add_f64_e32 v[46:47], v[62:63], v[46:47]
	v_add_f64_e64 v[140:141], v[140:141], -v[150:151]
	v_add_f64_e64 v[146:147], v[146:147], -v[98:99]
	v_add_f64_e32 v[156:157], v[82:83], v[156:157]
	v_add_f64_e32 v[158:159], v[28:29], v[158:159]
	v_add_f64_e64 v[28:29], v[28:29], -v[22:23]
	v_add_f64_e32 v[229:230], v[229:230], v[231:232]
	v_add_f64_e64 v[231:232], v[50:51], -v[64:65]
	v_add_f64_e64 v[122:123], v[122:123], -v[148:149]
	v_add_f64_e32 v[168:169], v[30:31], v[219:220]
	v_add_f64_e64 v[30:31], v[30:31], -v[40:41]
	v_add_f64_e64 v[36:37], v[36:37], -v[34:35]
	v_add_f64_e64 v[130:131], v[130:131], -v[54:55]
	v_add_f64_e64 v[26:27], v[26:27], -v[32:33]
	v_add_f64_e64 v[82:83], v[82:83], -v[126:127]
	v_add_f64_e64 v[90:91], v[90:91], -v[66:67]
	v_fma_f64 v[62:63], v[10:11], s[12:13], v[84:85]
	v_fma_f64 v[84:85], v[10:11], s[14:15], v[84:85]
	;; [unrolled: 1-line block ×4, first 2 shown]
	v_add_f64_e32 v[88:89], v[88:89], v[176:177]
	v_add_f64_e32 v[176:177], v[213:214], v[225:226]
	v_add_f64_e32 v[213:214], v[215:216], v[233:234]
	v_fma_f64 v[215:216], v[118:119], s[12:13], v[58:59]
	v_fma_f64 v[58:59], v[118:119], s[14:15], v[58:59]
	;; [unrolled: 1-line block ×4, first 2 shown]
	v_add_f64_e32 v[20:21], v[2:3], v[20:21]
	v_add_f64_e32 v[2:3], v[116:117], v[60:61]
	v_fma_f64 v[60:61], v[24:25], s[14:15], v[174:175]
	v_fma_f64 v[116:117], v[52:53], s[12:13], v[211:212]
	v_add_f64_e32 v[110:111], v[150:151], v[110:111]
	v_add_f64_e32 v[42:43], v[74:75], v[42:43]
	v_fma_f64 v[74:75], v[44:45], s[14:15], v[76:77]
	v_fma_f64 v[76:77], v[44:45], s[12:13], v[76:77]
	;; [unrolled: 1-line block ×3, first 2 shown]
	v_add_f64_e32 v[148:149], v[148:149], v[166:167]
	v_add_f64_e32 v[50:51], v[50:51], v[14:15]
	v_fma_f64 v[14:15], v[172:173], s[14:15], v[152:153]
	v_fma_f64 v[152:153], v[172:173], s[12:13], v[152:153]
	v_add_f64_e32 v[0:1], v[46:47], v[16:17]
	v_fma_f64 v[46:47], v[182:183], s[14:15], v[136:137]
	v_fma_f64 v[78:79], v[38:39], s[14:15], v[78:79]
	;; [unrolled: 1-line block ×7, first 2 shown]
	v_add_f64_e32 v[126:127], v[126:127], v[156:157]
	v_fma_f64 v[156:157], v[28:29], s[14:15], v[132:133]
	v_fma_f64 v[136:137], v[24:25], s[12:13], v[174:175]
	;; [unrolled: 1-line block ×3, first 2 shown]
	v_add_f64_e32 v[154:155], v[227:228], v[231:232]
	v_add_f64_e32 v[40:41], v[168:169], v[40:41]
	v_fma_f64 v[166:167], v[30:31], s[14:15], v[96:97]
	v_fma_f64 v[96:97], v[30:31], s[12:13], v[96:97]
	;; [unrolled: 1-line block ×6, first 2 shown]
	v_add_f64_e32 v[22:23], v[158:159], v[22:23]
	v_fma_f64 v[158:159], v[26:27], s[12:13], v[134:135]
	v_fma_f64 v[134:135], v[26:27], s[14:15], v[134:135]
	;; [unrolled: 1-line block ×19, first 2 shown]
	v_add_f64_e32 v[4:5], v[42:43], v[108:109]
	v_fma_f64 v[42:43], v[38:39], s[4:5], v[74:75]
	v_fma_f64 v[74:75], v[38:39], s[10:11], v[76:77]
	;; [unrolled: 1-line block ×3, first 2 shown]
	v_add_f64_e32 v[10:11], v[66:67], v[148:149]
	v_fma_f64 v[148:149], v[24:25], s[10:11], v[152:153]
	v_fma_f64 v[150:151], v[52:53], s[4:5], v[46:47]
	;; [unrolled: 1-line block ×11, first 2 shown]
	v_add_f64_e32 v[6:7], v[98:99], v[110:111]
	v_fma_f64 v[110:111], v[140:141], s[10:11], v[225:226]
	v_fma_f64 v[66:67], v[36:37], s[10:11], v[96:97]
	;; [unrolled: 1-line block ×8, first 2 shown]
	v_add_f64_e32 v[8:9], v[40:41], v[34:35]
	v_fma_f64 v[160:161], v[130:131], s[4:5], v[160:161]
	v_fma_f64 v[130:131], v[130:131], s[10:11], v[70:71]
	;; [unrolled: 1-line block ×8, first 2 shown]
	v_add_f64_e32 v[12:13], v[22:23], v[32:33]
	v_fma_f64 v[34:35], v[80:81], s[2:3], v[84:85]
	v_fma_f64 v[32:33], v[94:95], s[2:3], v[118:119]
	v_fma_f64 v[26:27], v[68:69], s[2:3], v[56:57]
	v_fma_f64 v[24:25], v[72:73], s[2:3], v[58:59]
	v_add_f64_e32 v[16:17], v[20:21], v[18:19]
	v_fma_f64 v[22:23], v[68:69], s[2:3], v[48:49]
	v_fma_f64 v[20:21], v[72:73], s[2:3], v[211:212]
	v_fma_f64 v[30:31], v[80:81], s[2:3], v[62:63]
	v_fma_f64 v[28:29], v[94:95], s[2:3], v[142:143]
	;; [unrolled: 5-line block ×3, first 2 shown]
	v_fma_f64 v[74:75], v[154:155], s[2:3], v[148:149]
	v_fma_f64 v[72:73], v[176:177], s[2:3], v[150:151]
	;; [unrolled: 1-line block ×9, first 2 shown]
	v_add_f64_e32 v[14:15], v[54:55], v[126:127]
	v_fma_f64 v[58:59], v[221:222], s[2:3], v[66:67]
	v_fma_f64 v[66:67], v[164:165], s[2:3], v[90:91]
	;; [unrolled: 1-line block ×7, first 2 shown]
	v_lshlrev_b32_e32 v202, 4, v235
	v_fma_f64 v[94:95], v[164:165], s[2:3], v[158:159]
	v_fma_f64 v[92:93], v[138:139], s[2:3], v[166:167]
	v_add_nc_u32_e32 v203, 0x271, v178
	v_fma_f64 v[62:63], v[223:224], s[2:3], v[96:97]
	v_fma_f64 v[98:99], v[223:224], s[2:3], v[98:99]
	v_fma_f64 v[96:97], v[229:230], s[2:3], v[122:123]
	v_fma_f64 v[56:57], v[128:129], s[2:3], v[140:141]
	v_add_co_u32 v112, vcc_lo, v186, v112
	v_fma_f64 v[54:55], v[221:222], s[2:3], v[40:41]
	v_fma_f64 v[52:53], v[128:129], s[2:3], v[120:121]
	;; [unrolled: 1-line block ×3, first 2 shown]
	s_wait_alu 0xfffd
	v_add_co_ci_u32_e32 v113, vcc_lo, v201, v113, vcc_lo
	v_add_co_u32 v235, vcc_lo, v186, v202
	v_lshlrev_b64_e32 v[202:203], 4, v[203:204]
	v_fma_f64 v[50:51], v[180:181], s[2:3], v[44:45]
	v_fma_f64 v[40:41], v[184:185], s[2:3], v[108:109]
	;; [unrolled: 1-line block ×3, first 2 shown]
	v_add_nc_u32_e32 v178, 0x9c4, v178
	s_wait_alu 0xfffd
	v_add_co_ci_u32_e32 v236, vcc_lo, 0, v201, vcc_lo
	v_add_co_u32 v108, vcc_lo, v186, v202
	s_wait_alu 0xfffd
	v_add_co_ci_u32_e32 v109, vcc_lo, v201, v203, vcc_lo
	v_lshlrev_b64_e32 v[178:179], 4, v[178:179]
	v_add_co_u32 v110, vcc_lo, v186, v237
	s_wait_alu 0xfffd
	v_add_co_ci_u32_e32 v111, vcc_lo, v201, v238, vcc_lo
	v_add_co_u32 v116, vcc_lo, v186, v239
	s_wait_alu 0xfffd
	v_add_co_ci_u32_e32 v117, vcc_lo, v201, v240, vcc_lo
	;; [unrolled: 3-line block ×3, first 2 shown]
	s_clause 0x18
	global_store_b128 v[235:236], v[0:3], off
	global_store_b128 v[235:236], v[32:35], off offset:10000
	global_store_b128 v[235:236], v[24:27], off offset:20000
	;; [unrolled: 1-line block ×4, first 2 shown]
	global_store_b128 v[193:194], v[16:19], off
	global_store_b128 v[199:200], v[80:83], off
	;; [unrolled: 1-line block ×20, first 2 shown]
.LBB0_15:
	s_nop 0
	s_sendmsg sendmsg(MSG_DEALLOC_VGPRS)
	s_endpgm
	.section	.rodata,"a",@progbits
	.p2align	6, 0x0
	.amdhsa_kernel fft_rtc_back_len3125_factors_5_5_5_5_5_wgs_125_tpt_125_halfLds_dp_op_CI_CI_unitstride_sbrr_dirReg
		.amdhsa_group_segment_fixed_size 0
		.amdhsa_private_segment_fixed_size 0
		.amdhsa_kernarg_size 104
		.amdhsa_user_sgpr_count 2
		.amdhsa_user_sgpr_dispatch_ptr 0
		.amdhsa_user_sgpr_queue_ptr 0
		.amdhsa_user_sgpr_kernarg_segment_ptr 1
		.amdhsa_user_sgpr_dispatch_id 0
		.amdhsa_user_sgpr_private_segment_size 0
		.amdhsa_wavefront_size32 1
		.amdhsa_uses_dynamic_stack 0
		.amdhsa_enable_private_segment 0
		.amdhsa_system_sgpr_workgroup_id_x 1
		.amdhsa_system_sgpr_workgroup_id_y 0
		.amdhsa_system_sgpr_workgroup_id_z 0
		.amdhsa_system_sgpr_workgroup_info 0
		.amdhsa_system_vgpr_workitem_id 0
		.amdhsa_next_free_vgpr 243
		.amdhsa_next_free_sgpr 39
		.amdhsa_reserve_vcc 1
		.amdhsa_float_round_mode_32 0
		.amdhsa_float_round_mode_16_64 0
		.amdhsa_float_denorm_mode_32 3
		.amdhsa_float_denorm_mode_16_64 3
		.amdhsa_fp16_overflow 0
		.amdhsa_workgroup_processor_mode 1
		.amdhsa_memory_ordered 1
		.amdhsa_forward_progress 0
		.amdhsa_round_robin_scheduling 0
		.amdhsa_exception_fp_ieee_invalid_op 0
		.amdhsa_exception_fp_denorm_src 0
		.amdhsa_exception_fp_ieee_div_zero 0
		.amdhsa_exception_fp_ieee_overflow 0
		.amdhsa_exception_fp_ieee_underflow 0
		.amdhsa_exception_fp_ieee_inexact 0
		.amdhsa_exception_int_div_zero 0
	.end_amdhsa_kernel
	.text
.Lfunc_end0:
	.size	fft_rtc_back_len3125_factors_5_5_5_5_5_wgs_125_tpt_125_halfLds_dp_op_CI_CI_unitstride_sbrr_dirReg, .Lfunc_end0-fft_rtc_back_len3125_factors_5_5_5_5_5_wgs_125_tpt_125_halfLds_dp_op_CI_CI_unitstride_sbrr_dirReg
                                        ; -- End function
	.section	.AMDGPU.csdata,"",@progbits
; Kernel info:
; codeLenInByte = 19700
; NumSgprs: 41
; NumVgprs: 243
; ScratchSize: 0
; MemoryBound: 1
; FloatMode: 240
; IeeeMode: 1
; LDSByteSize: 0 bytes/workgroup (compile time only)
; SGPRBlocks: 5
; VGPRBlocks: 30
; NumSGPRsForWavesPerEU: 41
; NumVGPRsForWavesPerEU: 243
; Occupancy: 5
; WaveLimiterHint : 1
; COMPUTE_PGM_RSRC2:SCRATCH_EN: 0
; COMPUTE_PGM_RSRC2:USER_SGPR: 2
; COMPUTE_PGM_RSRC2:TRAP_HANDLER: 0
; COMPUTE_PGM_RSRC2:TGID_X_EN: 1
; COMPUTE_PGM_RSRC2:TGID_Y_EN: 0
; COMPUTE_PGM_RSRC2:TGID_Z_EN: 0
; COMPUTE_PGM_RSRC2:TIDIG_COMP_CNT: 0
	.text
	.p2alignl 7, 3214868480
	.fill 96, 4, 3214868480
	.type	__hip_cuid_5404a57627205eb5,@object ; @__hip_cuid_5404a57627205eb5
	.section	.bss,"aw",@nobits
	.globl	__hip_cuid_5404a57627205eb5
__hip_cuid_5404a57627205eb5:
	.byte	0                               ; 0x0
	.size	__hip_cuid_5404a57627205eb5, 1

	.ident	"AMD clang version 19.0.0git (https://github.com/RadeonOpenCompute/llvm-project roc-6.4.0 25133 c7fe45cf4b819c5991fe208aaa96edf142730f1d)"
	.section	".note.GNU-stack","",@progbits
	.addrsig
	.addrsig_sym __hip_cuid_5404a57627205eb5
	.amdgpu_metadata
---
amdhsa.kernels:
  - .args:
      - .actual_access:  read_only
        .address_space:  global
        .offset:         0
        .size:           8
        .value_kind:     global_buffer
      - .offset:         8
        .size:           8
        .value_kind:     by_value
      - .actual_access:  read_only
        .address_space:  global
        .offset:         16
        .size:           8
        .value_kind:     global_buffer
      - .actual_access:  read_only
        .address_space:  global
        .offset:         24
        .size:           8
        .value_kind:     global_buffer
      - .actual_access:  read_only
        .address_space:  global
        .offset:         32
        .size:           8
        .value_kind:     global_buffer
      - .offset:         40
        .size:           8
        .value_kind:     by_value
      - .actual_access:  read_only
        .address_space:  global
        .offset:         48
        .size:           8
        .value_kind:     global_buffer
      - .actual_access:  read_only
        .address_space:  global
        .offset:         56
        .size:           8
        .value_kind:     global_buffer
      - .offset:         64
        .size:           4
        .value_kind:     by_value
      - .actual_access:  read_only
        .address_space:  global
        .offset:         72
        .size:           8
        .value_kind:     global_buffer
      - .actual_access:  read_only
        .address_space:  global
        .offset:         80
        .size:           8
        .value_kind:     global_buffer
      - .actual_access:  read_only
        .address_space:  global
        .offset:         88
        .size:           8
        .value_kind:     global_buffer
      - .actual_access:  write_only
        .address_space:  global
        .offset:         96
        .size:           8
        .value_kind:     global_buffer
    .group_segment_fixed_size: 0
    .kernarg_segment_align: 8
    .kernarg_segment_size: 104
    .language:       OpenCL C
    .language_version:
      - 2
      - 0
    .max_flat_workgroup_size: 125
    .name:           fft_rtc_back_len3125_factors_5_5_5_5_5_wgs_125_tpt_125_halfLds_dp_op_CI_CI_unitstride_sbrr_dirReg
    .private_segment_fixed_size: 0
    .sgpr_count:     41
    .sgpr_spill_count: 0
    .symbol:         fft_rtc_back_len3125_factors_5_5_5_5_5_wgs_125_tpt_125_halfLds_dp_op_CI_CI_unitstride_sbrr_dirReg.kd
    .uniform_work_group_size: 1
    .uses_dynamic_stack: false
    .vgpr_count:     243
    .vgpr_spill_count: 0
    .wavefront_size: 32
    .workgroup_processor_mode: 1
amdhsa.target:   amdgcn-amd-amdhsa--gfx1201
amdhsa.version:
  - 1
  - 2
...

	.end_amdgpu_metadata
